;; amdgpu-corpus repo=ROCm/aiter kind=harvested arch=n/a opt=n/a

/root/src/amdgpu-assembly/repos/ROCm__aiter/hsa/gfx942/fmha_v3_fwd/MI308/fwd_hd192x128_bf16_causal_rtne.co:	file format elf64-amdgpu

Disassembly of section .text:

0000000000003300 <_ZN5aiter35fmha_fwd_hd192x128_bf16_causal_rtneE>:
	s_and_b32 s1, s1, 0xffff                                   // 000000003300: 8601FF01 0000FFFF
	s_load_dwordx2 s[20:21], s[0:1], 0x0                       // 000000003308: C0060500 00000000
	s_load_dwordx2 s[8:9], s[0:1], 0x10                        // 000000003310: C0060200 00000010
	s_load_dwordx2 s[12:13], s[0:1], 0x20                      // 000000003318: C0060300 00000020
	s_load_dwordx2 s[16:17], s[0:1], 0x30                      // 000000003320: C0060400 00000030
	s_load_dwordx2 s[24:25], s[0:1], 0x40                      // 000000003328: C0060600 00000040
	s_load_dword s28, s[0:1], 0x50                             // 000000003330: C0020700 00000050
	s_load_dword s30, s[0:1], 0x60                             // 000000003338: C0020780 00000060
	s_load_dword s62, s[0:1], 0x70                             // 000000003340: C0020F80 00000070
	s_load_dword s31, s[0:1], 0x80                             // 000000003348: C00207C0 00000080
	s_load_dword s32, s[0:1], 0x90                             // 000000003350: C0020800 00000090
	s_load_dword s33, s[0:1], 0xa0                             // 000000003358: C0020840 000000A0
	s_load_dword s46, s[0:1], 0xb0                             // 000000003360: C0020B80 000000B0
	s_load_dword s61, s[0:1], 0xc0                             // 000000003368: C0020F40 000000C0
	s_load_dword s47, s[0:1], 0xd0                             // 000000003370: C0020BC0 000000D0
	s_load_dword s48, s[0:1], 0xe0                             // 000000003378: C0020C00 000000E0
	s_load_dword s34, s[0:1], 0xf0                             // 000000003380: C0020880 000000F0
	s_load_dword s37, s[0:1], 0x100                            // 000000003388: C0020940 00000100
	s_load_dword s7, s[0:1], 0x110                             // 000000003390: C00201C0 00000110
	s_load_dword s96, s[0:1], 0x140                            // 000000003398: C0021800 00000140
	s_load_dword s80, s[0:1], 0x150                            // 0000000033A0: C0021400 00000150
	s_load_dword s81, s[0:1], 0x160                            // 0000000033A8: C0021440 00000160
	s_load_dword s82, s[0:1], 0x170                            // 0000000033B0: C0021480 00000170
	s_load_dword s83, s[0:1], 0x180                            // 0000000033B8: C00214C0 00000180
	s_load_dword s84, s[0:1], 0x190                            // 0000000033C0: C0021500 00000190
	s_load_dword s85, s[0:1], 0x1a0                            // 0000000033C8: C0021540 000001A0
	s_load_dwordx2 s[76:77], s[0:1], 0x1b0                     // 0000000033D0: C0061300 000001B0
	s_load_dwordx2 s[78:79], s[0:1], 0x1c0                     // 0000000033D8: C0061380 000001C0
	s_load_dword s86, s[0:1], 0x1d0                            // 0000000033E0: C0021580 000001D0
	s_load_dwordx2 s[88:89], s[0:1], 0x1e0                     // 0000000033E8: C0061600 000001E0
	s_load_dwordx2 s[90:91], s[0:1], 0x1f0                     // 0000000033F0: C0061680 000001F0
	v_lshrrev_b32_e32 v1, 10, v0                               // 0000000033F8: 2002008A
	v_lshrrev_b32_e32 v2, 10, v1                               // 0000000033FC: 2004028A
	v_and_b32_e32 v2, 0x3ff, v2                                // 000000003400: 260404FF 000003FF
	v_and_b32_e32 v1, 0x3ff, v1                                // 000000003408: 260202FF 000003FF
	v_and_b32_e32 v0, 0x3ff, v0                                // 000000003410: 260000FF 000003FF
	v_lshrrev_b32_e32 v3, 6, v0                                // 000000003418: 20060086
	v_and_b32_e32 v0, 63, v0                                   // 00000000341C: 260000BF
	s_mov_b32 s2, s2                                           // 000000003420: BE820002
	s_mov_b32 s3, s3                                           // 000000003424: BE830003
	s_mov_b32 s4, s4                                           // 000000003428: BE840004
	v_readfirstlane_b32 s5, v3                                 // 00000000342C: 7E0A0503
	s_waitcnt lgkmcnt(0)                                       // 000000003430: BF8CC07F
	s_add_u32 s41, s30, 0x7f                                   // 000000003434: 8029FF1E 0000007F
	s_lshr_b32 s40, s41, 7                                     // 00000000343C: 8F288729
	s_sub_u32 s40, s40, 1                                      // 000000003440: 80A88128
	s_sub_u32 s3, s40, s3                                      // 000000003444: 80830328
	s_mov_b32 s34, 0                                           // 000000003448: BEA20080
	s_nop 0                                                    // 00000000344C: BF800000
	s_lshr_b32 s40, s34, 1                                     // 000000003450: 8F288122
	s_and_b32 s40, 3, s40                                      // 000000003454: 86282883
	s_cmp_lt_u32 s40, 1                                        // 000000003458: BF0A8128
	s_cbranch_scc1 label_0074                                  // 00000000345C: BF85001C
	s_add_u32 s41, s30, 0x7f                                   // 000000003460: 8029FF1E 0000007F
	s_lshr_b32 s41, s41, 7                                     // 000000003468: 8F298729
	s_add_u32 s41, s41, 1                                      // 00000000346C: 80298129
	s_lshr_b32 s6, s41, 1                                      // 000000003470: 8F068129
	s_cmp_eq_u32 s40, 2                                        // 000000003474: BF068228
	s_cbranch_scc1 label_0067                                  // 000000003478: BF850008
	s_lshr_b32 s41, s6, 2                                      // 00000000347C: 8F298206
	s_lshr_b32 s42, s3, 2                                      // 000000003480: 8F2A8203
	s_and_b32 s40, s3, 3                                       // 000000003484: 86288303
	s_mul_i32 s40, s40, s41                                    // 000000003488: 92282928
	s_add_u32 s40, s42, s40                                    // 00000000348C: 8028282A
	s_cmp_lt_i32 s42, s41                                      // 000000003490: BF04292A
	s_cselect_b32 s3, s40, s3                                  // 000000003494: 85030328
	s_branch label_0074                                        // 000000003498: BF82000D

000000000000349c <label_0067>:
	s_and_b32 s40, s2, 3                                       // 00000000349C: 86288302
	s_mul_i32 s40, s40, s6                                     // 0000000034A0: 92280628
	s_add_u32 s40, s40, s3                                     // 0000000034A4: 80280328
	s_and_b32 s41, s40, 3                                      // 0000000034A8: 86298328
	s_lshr_b32 s3, s40, 2                                      // 0000000034AC: 8F038228
	s_and_b32 s2, s2, -4                                       // 0000000034B0: 8602C402
	s_add_u32 s2, s2, s41                                      // 0000000034B4: 80022902
	s_nop 0                                                    // 0000000034B8: BF800000
	s_nop 0                                                    // 0000000034BC: BF800000
	s_nop 0                                                    // 0000000034C0: BF800000
	s_nop 0                                                    // 0000000034C4: BF800000
	s_nop 0                                                    // 0000000034C8: BF800000
	s_nop 0                                                    // 0000000034CC: BF800000

00000000000034d0 <label_0074>:
	s_mul_i32 s40, s30, s62                                    // 0000000034D0: 92283E1E
	s_mov_b32 s10, s40                                         // 0000000034D4: BE8A0028
	s_mul_i32 s40, s30, s83                                    // 0000000034D8: 9228531E
	s_mov_b32 s22, s40                                         // 0000000034DC: BE960028
	s_mul_i32 s40, s7, s61                                     // 0000000034E0: 92283D07
	s_mov_b32 s14, s40                                         // 0000000034E4: BE8E0028
	s_mul_i32 s40, s7, s80                                     // 0000000034E8: 92285007
	s_mov_b32 s18, s40                                         // 0000000034EC: BE920028
	s_mul_i32 s40, s30, 4                                      // 0000000034F0: 9228841E
	s_mov_b32 s26, s40                                         // 0000000034F4: BE9A0028
	s_mov_b32 s23, 0x20000                                     // 0000000034F8: BE9700FF 00020000
	s_mov_b32 s11, 0x20000                                     // 000000003500: BE8B00FF 00020000
	s_mov_b32 s15, 0x20000                                     // 000000003508: BE8F00FF 00020000
	s_mov_b32 s19, 0x20000                                     // 000000003510: BE9300FF 00020000
	s_mov_b32 s27, 0x20000                                     // 000000003518: BE9B00FF 00020000
	s_and_b32 s21, s21, 0xffff                                 // 000000003520: 8615FF15 0000FFFF
	s_and_b32 s9, s9, 0xffff                                   // 000000003528: 8609FF09 0000FFFF
	s_and_b32 s13, s13, 0xffff                                 // 000000003530: 860DFF0D 0000FFFF
	s_and_b32 s17, s17, 0xffff                                 // 000000003538: 8611FF11 0000FFFF
	s_and_b32 s25, s25, 0xffff                                 // 000000003540: 8619FF19 0000FFFF
	s_nop 0                                                    // 000000003548: BF800000
	s_nop 0                                                    // 00000000354C: BF800000
	s_mov_b32 s64, s2                                          // 000000003550: BEC00002
	s_mov_b32 s65, s46                                         // 000000003554: BEC1002E
	v_cvt_f32_u32_e32 v40, s65                                 // 000000003558: 7E500C41
	s_sub_i32 s40, 0, s65                                      // 00000000355C: 81A84180
	v_rcp_iflag_f32_e32 v40, v40                               // 000000003560: 7E504728
	s_nop 0                                                    // 000000003564: BF800000
	v_mul_f32_e32 v40, 0x4f7ffffe, v40                         // 000000003568: 0A5050FF 4F7FFFFE
	v_cvt_u32_f32_e32 v40, v40                                 // 000000003570: 7E500F28
	v_mul_lo_u32 v41, s40, v40                                 // 000000003574: D2850029 00025028
	v_mul_hi_u32 v41, v40, v41                                 // 00000000357C: D2860029 00025328
	v_add_u32_e32 v40, v40, v41                                // 000000003584: 68505328
	v_mul_hi_u32 v40, s64, v40                                 // 000000003588: D2860028 00025040
	v_mul_lo_u32 v41, v40, s65                                 // 000000003590: D2850029 00008328
	v_sub_u32_e32 v43, s64, v41                                // 000000003598: 6A565240
	v_add_u32_e32 v42, 1, v40                                  // 00000000359C: 68545081
	v_cmp_le_u32_e32 vcc, s65, v43                             // 0000000035A0: 7D965641
	v_subrev_u32_e32 v41, s65, v43                             // 0000000035A4: 6C525641
	s_nop 0                                                    // 0000000035A8: BF800000
	v_cndmask_b32_e32 v40, v40, v42, vcc                       // 0000000035AC: 00505528
	v_cndmask_b32_e32 v43, v43, v41, vcc                       // 0000000035B0: 0056532B
	v_add_u32_e32 v41, 1, v40                                  // 0000000035B4: 68525081
	v_cmp_le_u32_e32 vcc, s65, v43                             // 0000000035B8: 7D965641
	s_nop 1                                                    // 0000000035BC: BF800001
	v_cndmask_b32_e32 v43, v40, v41, vcc                       // 0000000035C0: 00565328
	s_nop 3                                                    // 0000000035C4: BF800003
	v_readfirstlane_b32 s66, v43                               // 0000000035C8: 7E84052B
	s_nop 3                                                    // 0000000035CC: BF800003
	s_mov_b32 s49, 0x7060302                                   // 0000000035D0: BEB100FF 07060302
	s_mov_b32 s50, 0x5040100                                   // 0000000035D8: BEB200FF 05040100
	v_mov_b32_e32 v65, 0xffff0000                              // 0000000035E0: 7E8202FF FFFF0000
	v_mov_b32_e32 v66, 0x7fff0000                              // 0000000035E8: 7E8402FF 7FFF0000
	v_mov_b32_e32 v67, 0x7fff                                  // 0000000035F0: 7E8602FF 00007FFF
	v_lshrrev_b32_e32 v40, 5, v0                               // 0000000035F8: 20500085
	v_sub_u32_e32 v40, 1, v40                                  // 0000000035FC: 6A505081
	v_mul_i32_i24_e32 v56, 0x80, v40                           // 000000003600: 0C7050FF 00000080
	v_and_b32_e32 v40, 31, v0                                  // 000000003608: 2650009F
	v_mul_i32_i24_e32 v40, 4, v40                              // 00000000360C: 0C505084
	v_add_u32_e32 v56, v40, v56                                // 000000003610: 68707128
	s_mov_b32 s60, 0                                           // 000000003614: BEBC0080
	s_mov_b32 s35, 0                                           // 000000003618: BEA30080
	s_mul_i32 s43, 32, s61                                     // 00000000361C: 922B3DA0
	s_mul_i32 s44, 32, s80                                     // 000000003620: 922C50A0
	s_mul_i32 s40, s4, s33                                     // 000000003624: 92282104
	s_mul_hi_u32 s42, s4, s33                                  // 000000003628: 962A2104
	s_and_b32 s42, s42, 0xffff                                 // 00000000362C: 862AFF2A 0000FFFF
	s_mul_i32 s41, s2, s32                                     // 000000003634: 92292002
	s_add_u32 s40, s40, s41                                    // 000000003638: 80282928
	s_add_u32 s8, s40, s8                                      // 00000000363C: 80080828
	s_addc_u32 s9, s42, s9                                     // 000000003640: 8209092A
	s_mul_i32 s40, s4, s85                                     // 000000003644: 92285504
	s_mul_hi_u32 s42, s4, s85                                  // 000000003648: 962A5504
	s_and_b32 s42, s42, 0xffff                                 // 00000000364C: 862AFF2A 0000FFFF
	s_mul_i32 s41, s2, s84                                     // 000000003654: 92295402
	s_add_u32 s40, s40, s41                                    // 000000003658: 80282928
	s_add_u32 s20, s40, s20                                    // 00000000365C: 80141428
	s_addc_u32 s21, s42, s21                                   // 000000003660: 8215152A
	s_mul_i32 s40, s96, s86                                    // 000000003664: 92285660
	s_mul_i32 s40, s4, s40                                     // 000000003668: 92282804
	s_mul_i32 s41, s2, s86                                     // 00000000366C: 92295602
	s_nop 0                                                    // 000000003670: BF800000
	s_add_i32 s40, s40, s41                                    // 000000003674: 81282928
	s_add_u32 s24, s40, s24                                    // 000000003678: 80181828
	s_addc_u32 s25, 0, s25                                     // 00000000367C: 82191980
	s_mul_i32 s40, s4, s48                                     // 000000003680: 92283004
	s_mul_hi_u32 s42, s4, s48                                  // 000000003684: 962A3004
	s_and_b32 s42, s42, 0xffff                                 // 000000003688: 862AFF2A 0000FFFF
	s_mul_i32 s41, s66, s47                                    // 000000003690: 92292F42
	s_add_u32 s40, s40, s41                                    // 000000003694: 80282928
	s_add_u32 s12, s40, s12                                    // 000000003698: 800C0C28
	s_addc_u32 s13, s42, s13                                   // 00000000369C: 820D0D2A
	s_mul_i32 s40, s4, s82                                     // 0000000036A0: 92285204
	s_mul_hi_u32 s42, s4, s82                                  // 0000000036A4: 962A5204
	s_and_b32 s42, s42, 0xffff                                 // 0000000036A8: 862AFF2A 0000FFFF
	s_mul_i32 s41, s66, s81                                    // 0000000036B0: 92295142
	s_add_u32 s40, s40, s41                                    // 0000000036B4: 80282928
	s_add_u32 s16, s40, s16                                    // 0000000036B8: 80101028
	s_addc_u32 s17, s42, s17                                   // 0000000036BC: 8211112A
	s_mov_b32 s52, 0                                           // 0000000036C0: BEB40080
	s_mov_b32 s53, 32                                          // 0000000036C4: BEB500A0
	s_mov_b32 s36, 0                                           // 0000000036C8: BEA40080
	s_mov_b32 s29, 0x3fb8aa3b                                  // 0000000036CC: BE9D00FF 3FB8AA3B
	v_mov_b32_e32 v55, 0xff800000                              // 0000000036D4: 7E6E02FF FF800000
	s_mov_b32 s59, 0                                           // 0000000036DC: BEBB0080
	s_lshr_b32 s54, s7, 5                                      // 0000000036E0: 8F368507
	s_lshl_b32 s54, s54, 5                                     // 0000000036E4: 8E368536
	v_lshrrev_b32_e32 v40, 5, v0                               // 0000000036E8: 20500085
	v_mul_i32_i24_e32 v54, 4, v40                              // 0000000036EC: 0C6C5084
	s_add_u32 s38, s3, 1                                       // 0000000036F0: 80268103
	s_lshl_b32 s38, s38, 7                                     // 0000000036F4: 8E268726
	s_lshl_b32 s51, s3, 7                                      // 0000000036F8: 8E338703
	s_sub_i32 s40, s7, s30                                     // 0000000036FC: 81A81E07
	s_add_i32 s51, s51, s40                                    // 000000003700: 81332833
	s_ashr_i32 s51, s51, 5                                     // 000000003704: 90338533
	s_lshl_b32 s51, s51, 5                                     // 000000003708: 8E338533
	s_add_i32 s38, s38, s40                                    // 00000000370C: 81262826
	s_cmp_lt_i32 s38, s7                                       // 000000003710: BF040726
	s_cselect_b32 s38, s38, s7                                 // 000000003714: 85260726
	s_cmp_lt_i32 s38, 32                                       // 000000003718: BF04A026
	s_cselect_b32 s38, 32, s38                                 // 00000000371C: 852626A0
	s_nop 0                                                    // 000000003720: BF800000
	s_nop 0                                                    // 000000003724: BF800000
	s_mul_i32 s40, s5, 32                                      // 000000003728: 9228A005
	v_lshrrev_b32_e32 v40, 5, v0                               // 00000000372C: 20500085
	v_mul_i32_i24_e32 v40, 4, v40                              // 000000003730: 0C505084
	v_and_b32_e32 v53, 31, v0                                  // 000000003734: 266A009F
	v_sub_i32 v53, v53, v40                                    // 000000003738: D29D0035 00025135
	s_nop 0                                                    // 000000003740: BF800000
	v_add_i32 v53, v53, s40                                    // 000000003744: D29C0035 00005135
	s_nop 0                                                    // 00000000374C: BF800000
	s_mov_b32 s39, 0                                           // 000000003750: BEA70080
	v_mov_b32_e32 v41, s29                                     // 000000003754: 7E52021D
	v_mov_b32_e32 v40, s28                                     // 000000003758: 7E50021C
	v_mul_f32_e32 v40, s29, v40                                // 00000000375C: 0A50501D
	v_rcp_f32_e32 v41, v41                                     // 000000003760: 7E524529
	v_mov_b32_e32 v46, 0                                       // 000000003764: 7E5C0280
	v_mov_b32_e32 v52, 0xff7fffff                              // 000000003768: 7E6802FF FF7FFFFF
	v_mov_b32_e32 v44, 0                                       // 000000003770: 7E580280
	v_mov_b32_e32 v46, 0                                       // 000000003774: 7E5C0280
	v_readfirstlane_b32 s56, v40                               // 000000003778: 7E700528
	v_readfirstlane_b32 s45, v41                               // 00000000377C: 7E5A0529
	v_rcp_f32_e32 v40, v40                                     // 000000003780: 7E504528
	s_nop 1                                                    // 000000003784: BF800001
	v_mul_f32_e32 v40, v52, v40                                // 000000003788: 0A505134
	v_max_f32_e32 v52, v52, v40                                // 00000000378C: 16685134
	s_mul_i32 s63, s3, s31                                     // 000000003790: 923F1F03
	v_lshrrev_b32_e32 v40, 5, v0                               // 000000003794: 20500085
	v_lshlrev_b32_e32 v40, 4, v40                              // 000000003798: 24505084
	v_mul_i32_i24_e64 v40, v40, s62                            // 00000000379C: D1060028 00007D28
	v_and_b32_e32 v4, 31, v0                                   // 0000000037A4: 2608009F
	v_lshlrev_b32_e32 v4, 2, v4                                // 0000000037A8: 24080882
	v_add_u32_e32 v4, v40, v4                                  // 0000000037AC: 68080928
	s_mul_i32 s41, s5, s62                                     // 0000000037B0: 92293E05
	v_add_u32_e32 v4, s41, v4                                  // 0000000037B4: 68080829
	s_mul_i32 s40, 4, s62                                      // 0000000037B8: 92283E84
	v_add_u32_e32 v5, s40, v4                                  // 0000000037BC: 680A0828
	v_add_u32_e32 v6, s40, v5                                  // 0000000037C0: 680C0A28
	v_add_u32_e32 v7, s40, v6                                  // 0000000037C4: 680E0C28
	v_add_u32_e32 v8, 0x80, v4                                 // 0000000037C8: 681008FF 00000080
	v_add_u32_e32 v9, 0x80, v5                                 // 0000000037D0: 68120AFF 00000080
	v_add_u32_e32 v10, 0x80, v6                                // 0000000037D8: 68140CFF 00000080
	v_add_u32_e32 v11, 0x80, v7                                // 0000000037E0: 68160EFF 00000080
	v_add_u32_e32 v12, 0x80, v8                                // 0000000037E8: 681810FF 00000080
	v_add_u32_e32 v13, 0x80, v9                                // 0000000037F0: 681A12FF 00000080
	v_add_u32_e32 v14, 0x80, v10                               // 0000000037F8: 681C14FF 00000080
	v_add_u32_e32 v15, 0x80, v11                               // 000000003800: 681E16FF 00000080
	v_add_u32_e32 v4, s63, v4                                  // 000000003808: 6808083F
	v_add_u32_e32 v5, s63, v5                                  // 00000000380C: 680A0A3F
	v_add_u32_e32 v6, s63, v6                                  // 000000003810: 680C0C3F
	v_add_u32_e32 v7, s63, v7                                  // 000000003814: 680E0E3F
	v_add_u32_e32 v8, s63, v8                                  // 000000003818: 6810103F
	v_add_u32_e32 v9, s63, v9                                  // 00000000381C: 6812123F
	v_add_u32_e32 v10, s63, v10                                // 000000003820: 6814143F
	v_add_u32_e32 v11, s63, v11                                // 000000003824: 6816163F
	v_add_u32_e32 v12, s63, v12                                // 000000003828: 6818183F
	v_add_u32_e32 v13, s63, v13                                // 00000000382C: 681A1A3F
	v_add_u32_e32 v14, s63, v14                                // 000000003830: 681C1C3F
	v_add_u32_e32 v15, s63, v15                                // 000000003834: 681E1E3F
	s_mul_i32 s40, s5, 0x110                                   // 000000003838: 9228FF05 00000110
	s_add_u32 s55, 0, s40                                      // 000000003840: 80372880
	s_mov_b32 s57, s56                                         // 000000003844: BEB90038
	s_mov_b32 s40, 0                                           // 000000003848: BEA80080
	s_add_u32 s58, s40, s55                                    // 00000000384C: 803A3728
	s_mul_i32 s59, 0, s62                                      // 000000003850: 923B3E80
	s_mov_b32 m0, s58                                          // 000000003854: BEFC003A
	buffer_load_dword v4, s[8:11], s59 offen lds               // 000000003858: E0511000 3B020004
	s_add_u32 m0, 0x440, m0                                    // 000000003860: 807C7CFF 00000440
	buffer_load_dword v5, s[8:11], s59 offen lds               // 000000003868: E0511000 3B020005
	s_add_u32 m0, 0x440, m0                                    // 000000003870: 807C7CFF 00000440
	buffer_load_dword v6, s[8:11], s59 offen lds               // 000000003878: E0511000 3B020006
	s_add_u32 m0, 0x440, m0                                    // 000000003880: 807C7CFF 00000440
	buffer_load_dword v7, s[8:11], s59 offen lds               // 000000003888: E0511000 3B020007
	s_add_u32 m0, 0x440, m0                                    // 000000003890: 807C7CFF 00000440
	buffer_load_dword v8, s[8:11], s59 offen lds               // 000000003898: E0511000 3B020008
	s_add_u32 m0, 0x440, m0                                    // 0000000038A0: 807C7CFF 00000440
	buffer_load_dword v9, s[8:11], s59 offen lds               // 0000000038A8: E0511000 3B020009
	s_add_u32 m0, 0x440, m0                                    // 0000000038B0: 807C7CFF 00000440
	buffer_load_dword v10, s[8:11], s59 offen lds              // 0000000038B8: E0511000 3B02000A
	s_add_u32 m0, 0x440, m0                                    // 0000000038C0: 807C7CFF 00000440
	buffer_load_dword v11, s[8:11], s59 offen lds              // 0000000038C8: E0511000 3B02000B
	s_add_u32 m0, 0x440, m0                                    // 0000000038D0: 807C7CFF 00000440
	buffer_load_dword v12, s[8:11], s59 offen lds              // 0000000038D8: E0511000 3B02000C
	s_add_u32 m0, 0x440, m0                                    // 0000000038E0: 807C7CFF 00000440
	buffer_load_dword v13, s[8:11], s59 offen lds              // 0000000038E8: E0511000 3B02000D
	s_add_u32 m0, 0x440, m0                                    // 0000000038F0: 807C7CFF 00000440
	buffer_load_dword v14, s[8:11], s59 offen lds              // 0000000038F8: E0511000 3B02000E
	s_add_u32 m0, 0x440, m0                                    // 000000003900: 807C7CFF 00000440
	buffer_load_dword v15, s[8:11], s59 offen lds              // 000000003908: E0511000 3B02000F
	s_mov_b32 s40, 0x3300                                      // 000000003910: BEA800FF 00003300
	s_add_u32 s58, s40, s55                                    // 000000003918: 803A3728
	s_mul_i32 s59, 32, s62                                     // 00000000391C: 923B3EA0
	s_nop 0                                                    // 000000003920: BF800000
	s_mov_b32 m0, s58                                          // 000000003924: BEFC003A
	buffer_load_dword v4, s[8:11], s59 offen lds               // 000000003928: E0511000 3B020004
	s_add_u32 m0, 0x440, m0                                    // 000000003930: 807C7CFF 00000440
	buffer_load_dword v5, s[8:11], s59 offen lds               // 000000003938: E0511000 3B020005
	s_add_u32 m0, 0x440, m0                                    // 000000003940: 807C7CFF 00000440
	buffer_load_dword v6, s[8:11], s59 offen lds               // 000000003948: E0511000 3B020006
	s_add_u32 m0, 0x440, m0                                    // 000000003950: 807C7CFF 00000440
	buffer_load_dword v7, s[8:11], s59 offen lds               // 000000003958: E0511000 3B020007
	s_add_u32 m0, 0x440, m0                                    // 000000003960: 807C7CFF 00000440
	buffer_load_dword v8, s[8:11], s59 offen lds               // 000000003968: E0511000 3B020008
	s_add_u32 m0, 0x440, m0                                    // 000000003970: 807C7CFF 00000440
	buffer_load_dword v9, s[8:11], s59 offen lds               // 000000003978: E0511000 3B020009
	s_add_u32 m0, 0x440, m0                                    // 000000003980: 807C7CFF 00000440
	buffer_load_dword v10, s[8:11], s59 offen lds              // 000000003988: E0511000 3B02000A
	s_add_u32 m0, 0x440, m0                                    // 000000003990: 807C7CFF 00000440
	buffer_load_dword v11, s[8:11], s59 offen lds              // 000000003998: E0511000 3B02000B
	s_add_u32 m0, 0x440, m0                                    // 0000000039A0: 807C7CFF 00000440
	buffer_load_dword v12, s[8:11], s59 offen lds              // 0000000039A8: E0511000 3B02000C
	s_add_u32 m0, 0x440, m0                                    // 0000000039B0: 807C7CFF 00000440
	buffer_load_dword v13, s[8:11], s59 offen lds              // 0000000039B8: E0511000 3B02000D
	s_add_u32 m0, 0x440, m0                                    // 0000000039C0: 807C7CFF 00000440
	buffer_load_dword v14, s[8:11], s59 offen lds              // 0000000039C8: E0511000 3B02000E
	s_add_u32 m0, 0x440, m0                                    // 0000000039D0: 807C7CFF 00000440
	buffer_load_dword v15, s[8:11], s59 offen lds              // 0000000039D8: E0511000 3B02000F
	s_mov_b32 s40, 0x6600                                      // 0000000039E0: BEA800FF 00006600
	s_add_u32 s58, s40, s55                                    // 0000000039E8: 803A3728
	s_mul_i32 s59, 64, s62                                     // 0000000039EC: 923B3EC0
	s_nop 0                                                    // 0000000039F0: BF800000
	s_mov_b32 m0, s58                                          // 0000000039F4: BEFC003A
	buffer_load_dword v4, s[8:11], s59 offen lds               // 0000000039F8: E0511000 3B020004
	s_add_u32 m0, 0x440, m0                                    // 000000003A00: 807C7CFF 00000440
	buffer_load_dword v5, s[8:11], s59 offen lds               // 000000003A08: E0511000 3B020005
	s_add_u32 m0, 0x440, m0                                    // 000000003A10: 807C7CFF 00000440
	buffer_load_dword v6, s[8:11], s59 offen lds               // 000000003A18: E0511000 3B020006
	s_add_u32 m0, 0x440, m0                                    // 000000003A20: 807C7CFF 00000440
	buffer_load_dword v7, s[8:11], s59 offen lds               // 000000003A28: E0511000 3B020007
	s_add_u32 m0, 0x440, m0                                    // 000000003A30: 807C7CFF 00000440
	buffer_load_dword v8, s[8:11], s59 offen lds               // 000000003A38: E0511000 3B020008
	s_add_u32 m0, 0x440, m0                                    // 000000003A40: 807C7CFF 00000440
	buffer_load_dword v9, s[8:11], s59 offen lds               // 000000003A48: E0511000 3B020009
	s_add_u32 m0, 0x440, m0                                    // 000000003A50: 807C7CFF 00000440
	buffer_load_dword v10, s[8:11], s59 offen lds              // 000000003A58: E0511000 3B02000A
	s_add_u32 m0, 0x440, m0                                    // 000000003A60: 807C7CFF 00000440
	buffer_load_dword v11, s[8:11], s59 offen lds              // 000000003A68: E0511000 3B02000B
	s_add_u32 m0, 0x440, m0                                    // 000000003A70: 807C7CFF 00000440
	buffer_load_dword v12, s[8:11], s59 offen lds              // 000000003A78: E0511000 3B02000C
	s_add_u32 m0, 0x440, m0                                    // 000000003A80: 807C7CFF 00000440
	buffer_load_dword v13, s[8:11], s59 offen lds              // 000000003A88: E0511000 3B02000D
	s_add_u32 m0, 0x440, m0                                    // 000000003A90: 807C7CFF 00000440
	buffer_load_dword v14, s[8:11], s59 offen lds              // 000000003A98: E0511000 3B02000E
	s_add_u32 m0, 0x440, m0                                    // 000000003AA0: 807C7CFF 00000440
	buffer_load_dword v15, s[8:11], s59 offen lds              // 000000003AA8: E0511000 3B02000F
	s_mov_b32 s40, 0x9900                                      // 000000003AB0: BEA800FF 00009900
	s_add_u32 s58, s40, s55                                    // 000000003AB8: 803A3728
	s_mul_i32 s59, 0x60, s62                                   // 000000003ABC: 923B3EFF 00000060
	s_mov_b32 m0, s58                                          // 000000003AC4: BEFC003A
	buffer_load_dword v4, s[8:11], s59 offen lds               // 000000003AC8: E0511000 3B020004
	s_add_u32 m0, 0x440, m0                                    // 000000003AD0: 807C7CFF 00000440
	buffer_load_dword v5, s[8:11], s59 offen lds               // 000000003AD8: E0511000 3B020005
	s_add_u32 m0, 0x440, m0                                    // 000000003AE0: 807C7CFF 00000440
	buffer_load_dword v6, s[8:11], s59 offen lds               // 000000003AE8: E0511000 3B020006
	s_add_u32 m0, 0x440, m0                                    // 000000003AF0: 807C7CFF 00000440
	buffer_load_dword v7, s[8:11], s59 offen lds               // 000000003AF8: E0511000 3B020007
	s_add_u32 m0, 0x440, m0                                    // 000000003B00: 807C7CFF 00000440
	buffer_load_dword v8, s[8:11], s59 offen lds               // 000000003B08: E0511000 3B020008
	s_add_u32 m0, 0x440, m0                                    // 000000003B10: 807C7CFF 00000440
	buffer_load_dword v9, s[8:11], s59 offen lds               // 000000003B18: E0511000 3B020009
	s_add_u32 m0, 0x440, m0                                    // 000000003B20: 807C7CFF 00000440
	buffer_load_dword v10, s[8:11], s59 offen lds              // 000000003B28: E0511000 3B02000A
	s_add_u32 m0, 0x440, m0                                    // 000000003B30: 807C7CFF 00000440
	buffer_load_dword v11, s[8:11], s59 offen lds              // 000000003B38: E0511000 3B02000B
	s_add_u32 m0, 0x440, m0                                    // 000000003B40: 807C7CFF 00000440
	buffer_load_dword v12, s[8:11], s59 offen lds              // 000000003B48: E0511000 3B02000C
	s_add_u32 m0, 0x440, m0                                    // 000000003B50: 807C7CFF 00000440
	buffer_load_dword v13, s[8:11], s59 offen lds              // 000000003B58: E0511000 3B02000D
	s_add_u32 m0, 0x440, m0                                    // 000000003B60: 807C7CFF 00000440
	buffer_load_dword v14, s[8:11], s59 offen lds              // 000000003B68: E0511000 3B02000E
	s_add_u32 m0, 0x440, m0                                    // 000000003B70: 807C7CFF 00000440
	buffer_load_dword v15, s[8:11], s59 offen lds              // 000000003B78: E0511000 3B02000F
	v_mov_b32_e32 v100, 0                                      // 000000003B80: 7EC80280
	v_mov_b32_e32 v101, 0                                      // 000000003B84: 7ECA0280
	v_mov_b32_e32 v102, 0                                      // 000000003B88: 7ECC0280
	v_mov_b32_e32 v103, 0                                      // 000000003B8C: 7ECE0280
	v_mov_b32_e32 v104, 0                                      // 000000003B90: 7ED00280
	v_mov_b32_e32 v105, 0                                      // 000000003B94: 7ED20280
	v_mov_b32_e32 v106, 0                                      // 000000003B98: 7ED40280
	v_mov_b32_e32 v107, 0                                      // 000000003B9C: 7ED60280
	v_mov_b32_e32 v108, 0                                      // 000000003BA0: 7ED80280
	v_mov_b32_e32 v109, 0                                      // 000000003BA4: 7EDA0280
	v_mov_b32_e32 v110, 0                                      // 000000003BA8: 7EDC0280
	v_mov_b32_e32 v111, 0                                      // 000000003BAC: 7EDE0280
	v_mov_b32_e32 v112, 0                                      // 000000003BB0: 7EE00280
	v_mov_b32_e32 v113, 0                                      // 000000003BB4: 7EE20280
	v_mov_b32_e32 v114, 0                                      // 000000003BB8: 7EE40280
	v_mov_b32_e32 v115, 0                                      // 000000003BBC: 7EE60280
	v_mov_b32_e32 v116, 0                                      // 000000003BC0: 7EE80280
	v_mov_b32_e32 v117, 0                                      // 000000003BC4: 7EEA0280
	v_mov_b32_e32 v118, 0                                      // 000000003BC8: 7EEC0280
	v_mov_b32_e32 v119, 0                                      // 000000003BCC: 7EEE0280
	v_mov_b32_e32 v120, 0                                      // 000000003BD0: 7EF00280
	v_mov_b32_e32 v121, 0                                      // 000000003BD4: 7EF20280
	v_mov_b32_e32 v122, 0                                      // 000000003BD8: 7EF40280
	v_mov_b32_e32 v123, 0                                      // 000000003BDC: 7EF60280
	v_mov_b32_e32 v124, 0                                      // 000000003BE0: 7EF80280
	v_mov_b32_e32 v125, 0                                      // 000000003BE4: 7EFA0280
	v_mov_b32_e32 v126, 0                                      // 000000003BE8: 7EFC0280
	v_mov_b32_e32 v127, 0                                      // 000000003BEC: 7EFE0280
	v_mov_b32_e32 v128, 0                                      // 000000003BF0: 7F000280
	v_mov_b32_e32 v129, 0                                      // 000000003BF4: 7F020280
	v_mov_b32_e32 v130, 0                                      // 000000003BF8: 7F040280
	v_mov_b32_e32 v131, 0                                      // 000000003BFC: 7F060280
	v_mov_b32_e32 v132, 0                                      // 000000003C00: 7F080280
	v_mov_b32_e32 v133, 0                                      // 000000003C04: 7F0A0280
	v_mov_b32_e32 v134, 0                                      // 000000003C08: 7F0C0280
	v_mov_b32_e32 v135, 0                                      // 000000003C0C: 7F0E0280
	v_mov_b32_e32 v136, 0                                      // 000000003C10: 7F100280
	v_mov_b32_e32 v137, 0                                      // 000000003C14: 7F120280
	v_mov_b32_e32 v138, 0                                      // 000000003C18: 7F140280
	v_mov_b32_e32 v139, 0                                      // 000000003C1C: 7F160280
	v_mov_b32_e32 v140, 0                                      // 000000003C20: 7F180280
	v_mov_b32_e32 v141, 0                                      // 000000003C24: 7F1A0280
	v_mov_b32_e32 v142, 0                                      // 000000003C28: 7F1C0280
	v_mov_b32_e32 v143, 0                                      // 000000003C2C: 7F1E0280
	v_mov_b32_e32 v144, 0                                      // 000000003C30: 7F200280
	v_mov_b32_e32 v145, 0                                      // 000000003C34: 7F220280
	v_mov_b32_e32 v146, 0                                      // 000000003C38: 7F240280
	v_mov_b32_e32 v147, 0                                      // 000000003C3C: 7F260280
	v_mov_b32_e32 v148, 0                                      // 000000003C40: 7F280280
	v_mov_b32_e32 v149, 0                                      // 000000003C44: 7F2A0280
	v_mov_b32_e32 v150, 0                                      // 000000003C48: 7F2C0280
	v_mov_b32_e32 v151, 0                                      // 000000003C4C: 7F2E0280
	v_mov_b32_e32 v152, 0                                      // 000000003C50: 7F300280
	v_mov_b32_e32 v153, 0                                      // 000000003C54: 7F320280
	v_mov_b32_e32 v154, 0                                      // 000000003C58: 7F340280
	v_mov_b32_e32 v155, 0                                      // 000000003C5C: 7F360280
	v_mov_b32_e32 v156, 0                                      // 000000003C60: 7F380280
	v_mov_b32_e32 v157, 0                                      // 000000003C64: 7F3A0280
	v_mov_b32_e32 v158, 0                                      // 000000003C68: 7F3C0280
	v_mov_b32_e32 v159, 0                                      // 000000003C6C: 7F3E0280
	v_mov_b32_e32 v160, 0                                      // 000000003C70: 7F400280
	v_mov_b32_e32 v161, 0                                      // 000000003C74: 7F420280
	v_mov_b32_e32 v162, 0                                      // 000000003C78: 7F440280
	v_mov_b32_e32 v163, 0                                      // 000000003C7C: 7F460280
	s_cmp_le_u32 s7, 0                                         // 000000003C80: BF0B8007
	s_cbranch_scc1 label_111A                                  // 000000003C84: BF850EB8
	v_lshrrev_b32_e32 v40, 5, v0                               // 000000003C88: 20500085
	v_mul_i32_i24_e32 v41, 4, v40                              // 000000003C8C: 0C525084
	v_and_b32_e32 v40, 31, v0                                  // 000000003C90: 2650009F
	v_lshrrev_b32_e32 v42, 4, v40                              // 000000003C94: 20545084
	v_mul_i32_i24_e32 v42, 32, v42                             // 000000003C98: 0C5454A0
	v_and_b32_e32 v43, 15, v40                                 // 000000003C9C: 2656508F
	v_mul_i32_i24_e32 v2, 0x44, v43                            // 000000003CA0: 0C0456FF 00000044
	v_add_u32_e32 v2, v2, v42                                  // 000000003CA8: 68045502
	v_add_u32_e32 v2, v2, v41                                  // 000000003CAC: 68045302
	v_lshlrev_b32_e32 v2, 2, v2                                // 000000003CB0: 24040482
	s_and_b32 s40, 3, s5                                       // 000000003CB4: 86280583
	s_mul_i32 s40, s40, 0x3300                                 // 000000003CB8: 9228FF28 00003300
	v_add_u32_e32 v2, s40, v2                                  // 000000003CC0: 68040428
	v_lshrrev_b32_e32 v40, 5, v0                               // 000000003CC4: 20500085
	v_mul_i32_i24_e32 v41, 4, v40                              // 000000003CC8: 0C525084
	v_and_b32_e32 v40, 31, v0                                  // 000000003CCC: 2650009F
	v_lshrrev_b32_e32 v42, 4, v40                              // 000000003CD0: 20545084
	v_mul_i32_i24_e32 v42, 32, v42                             // 000000003CD4: 0C5454A0
	v_and_b32_e32 v43, 15, v40                                 // 000000003CD8: 2656508F
	v_mul_i32_i24_e32 v36, 0x44, v43                           // 000000003CDC: 0C4856FF 00000044
	v_add_u32_e32 v36, v36, v42                                // 000000003CE4: 68485524
	v_add_u32_e32 v36, v36, v41                                // 000000003CE8: 68485324
	v_lshlrev_b32_e32 v36, 2, v36                              // 000000003CEC: 24484882
	v_lshrrev_b32_e32 v40, 5, v0                               // 000000003CF0: 20500085
	v_mul_i32_i24_e32 v41, 0x100, v40                          // 000000003CF4: 0C5250FF 00000100
	v_and_b32_e32 v40, 30, v0                                  // 000000003CFC: 2650009E
	v_lshlrev_b32_e32 v40, 1, v40                              // 000000003D00: 24505081
	v_add_u32_e32 v37, v41, v40                                // 000000003D04: 684A5129
	v_and_b32_e32 v40, 1, v0                                   // 000000003D08: 26500081
	v_mul_i32_i24_e32 v40, 0x410, v40                          // 000000003D0C: 0C5050FF 00000410
	v_add_u32_e32 v37, v40, v37                                // 000000003D14: 684A4B28
	v_lshlrev_b32_e32 v37, 2, v37                              // 000000003D18: 244A4A82
	v_lshlrev_b32_e32 v38, 2, v0                               // 000000003D1C: 244C0082
	s_mul_i32 s40, s5, 0x100                                   // 000000003D20: 9228FF05 00000100
	v_add_u32_e32 v38, s40, v38                                // 000000003D28: 684C4C28
	v_lshlrev_b32_e32 v38, 2, v38                              // 000000003D2C: 244C4C82
	v_lshrrev_b32_e32 v40, 5, v0                               // 000000003D30: 20500085
	v_lshlrev_b32_e32 v40, 4, v40                              // 000000003D34: 24505084
	v_mul_i32_i24_e64 v40, v40, s61                            // 000000003D38: D1060028 00007B28
	v_and_b32_e32 v16, 31, v0                                  // 000000003D40: 2620009F
	v_lshlrev_b32_e32 v16, 2, v16                              // 000000003D44: 24202082
	v_add_u32_e32 v16, v40, v16                                // 000000003D48: 68202128
	s_mul_i32 s41, s5, s61                                     // 000000003D4C: 92293D05
	v_add_u32_e32 v16, s41, v16                                // 000000003D50: 68202029
	s_mul_i32 s40, 4, s61                                      // 000000003D54: 92283D84
	v_add_u32_e32 v17, s40, v16                                // 000000003D58: 68222028
	v_add_u32_e32 v18, s40, v17                                // 000000003D5C: 68242228
	v_add_u32_e32 v19, s40, v18                                // 000000003D60: 68262428
	v_add_u32_e32 v20, 0x80, v16                               // 000000003D64: 682820FF 00000080
	v_add_u32_e32 v21, 0x80, v17                               // 000000003D6C: 682A22FF 00000080
	v_add_u32_e32 v22, 0x80, v18                               // 000000003D74: 682C24FF 00000080
	v_add_u32_e32 v23, 0x80, v19                               // 000000003D7C: 682E26FF 00000080
	v_add_u32_e32 v24, 0x80, v20                               // 000000003D84: 683028FF 00000080
	v_add_u32_e32 v25, 0x80, v21                               // 000000003D8C: 68322AFF 00000080
	v_add_u32_e32 v26, 0x80, v22                               // 000000003D94: 68342CFF 00000080
	v_add_u32_e32 v27, 0x80, v23                               // 000000003D9C: 68362EFF 00000080
	s_mul_i32 s40, s5, 0x110                                   // 000000003DA4: 9228FF05 00000110
	s_add_u32 s68, 0, s40                                      // 000000003DAC: 80442880
	s_add_u32 s69, 0x3300, s68                                 // 000000003DB0: 804544FF 00003300
	v_lshlrev_b32_e32 v28, 2, v0                               // 000000003DB8: 24380082
	s_and_b32 s40, 1, s5                                       // 000000003DBC: 86280581
	s_lshl_b32 s40, s40, 2                                     // 000000003DC0: 8E288228
	s_lshr_b32 s41, s5, 1                                      // 000000003DC4: 8F298105
	s_lshl_b32 s41, s41, 4                                     // 000000003DC8: 8E298429
	s_add_i32 s40, s40, s41                                    // 000000003DCC: 81282928
	s_mul_i32 s40, s40, s80                                    // 000000003DD0: 92285028
	v_add_u32_e32 v28, s40, v28                                // 000000003DD4: 68383828
	v_add_u32_e32 v29, s80, v28                                // 000000003DD8: 683A3850
	v_add_u32_e32 v30, s80, v29                                // 000000003DDC: 683C3A50
	v_add_u32_e32 v31, s80, v30                                // 000000003DE0: 683E3C50
	s_mul_i32 s40, s80, 8                                      // 000000003DE4: 92288850
	v_add_u32_e32 v32, s40, v28                                // 000000003DE8: 68403828
	v_add_u32_e32 v33, s40, v29                                // 000000003DEC: 68423A28
	v_add_u32_e32 v34, s40, v30                                // 000000003DF0: 68443C28
	v_add_u32_e32 v35, s40, v31                                // 000000003DF4: 68463E28
	s_waitcnt vmcnt(24)                                        // 000000003DF8: BF8C4F78
	s_barrier                                                  // 000000003DFC: BF8A0000
	s_cmp_lt_i32 s5, 2                                         // 000000003E00: BF048205
	s_cbranch_scc0 label_02DA                                  // 000000003E04: BF840018
	ds_read_b128 a[0:3], v2                                    // 000000003E08: DBFE0000 00000002
	ds_read_b128 a[4:7], v2 offset:32                          // 000000003E10: DBFE0020 04000002
	ds_read_b128 a[8:11], v2 offset:64                         // 000000003E18: DBFE0040 08000002
	ds_read_b128 a[12:15], v2 offset:96                        // 000000003E20: DBFE0060 0C000002
	ds_read_b128 a[16:19], v2 offset:4352                      // 000000003E28: DBFE1100 10000002
	ds_read_b128 a[20:23], v2 offset:4384                      // 000000003E30: DBFE1120 14000002
	ds_read_b128 a[24:27], v2 offset:4416                      // 000000003E38: DBFE1140 18000002
	ds_read_b128 a[28:31], v2 offset:4448                      // 000000003E40: DBFE1160 1C000002
	ds_read_b128 a[32:35], v2 offset:8704                      // 000000003E48: DBFE2200 20000002
	ds_read_b128 a[36:39], v2 offset:8736                      // 000000003E50: DBFE2220 24000002
	ds_read_b128 a[40:43], v2 offset:8768                      // 000000003E58: DBFE2240 28000002
	ds_read_b128 a[44:47], v2 offset:8800                      // 000000003E60: DBFE2260 2C000002

0000000000003e68 <label_02DA>:
	s_waitcnt lgkmcnt(0)                                       // 000000003E68: BF8CC07F
	s_barrier                                                  // 000000003E6C: BF8A0000
	s_nop 0                                                    // 000000003E70: BF800000
	s_mov_b32 m0, s68                                          // 000000003E74: BEFC0044
	buffer_load_dword v16, s[12:15], s60 offen lds             // 000000003E78: E0511000 3C030010
	s_add_u32 m0, 0x440, m0                                    // 000000003E80: 807C7CFF 00000440
	buffer_load_dword v17, s[12:15], s60 offen lds             // 000000003E88: E0511000 3C030011
	s_add_u32 m0, 0x440, m0                                    // 000000003E90: 807C7CFF 00000440
	buffer_load_dword v18, s[12:15], s60 offen lds             // 000000003E98: E0511000 3C030012
	s_add_u32 m0, 0x440, m0                                    // 000000003EA0: 807C7CFF 00000440
	buffer_load_dword v19, s[12:15], s60 offen lds             // 000000003EA8: E0511000 3C030013
	s_add_u32 m0, 0x440, m0                                    // 000000003EB0: 807C7CFF 00000440
	buffer_load_dword v20, s[12:15], s60 offen lds             // 000000003EB8: E0511000 3C030014
	s_add_u32 m0, 0x440, m0                                    // 000000003EC0: 807C7CFF 00000440
	buffer_load_dword v21, s[12:15], s60 offen lds             // 000000003EC8: E0511000 3C030015
	s_add_u32 m0, 0x440, m0                                    // 000000003ED0: 807C7CFF 00000440
	buffer_load_dword v22, s[12:15], s60 offen lds             // 000000003ED8: E0511000 3C030016
	s_add_u32 m0, 0x440, m0                                    // 000000003EE0: 807C7CFF 00000440
	buffer_load_dword v23, s[12:15], s60 offen lds             // 000000003EE8: E0511000 3C030017
	s_add_u32 m0, 0x440, m0                                    // 000000003EF0: 807C7CFF 00000440
	buffer_load_dword v24, s[12:15], s60 offen lds             // 000000003EF8: E0511000 3C030018
	s_add_u32 m0, 0x440, m0                                    // 000000003F00: 807C7CFF 00000440
	buffer_load_dword v25, s[12:15], s60 offen lds             // 000000003F08: E0511000 3C030019
	s_add_u32 m0, 0x440, m0                                    // 000000003F10: 807C7CFF 00000440
	buffer_load_dword v26, s[12:15], s60 offen lds             // 000000003F18: E0511000 3C03001A
	s_add_u32 m0, 0x440, m0                                    // 000000003F20: 807C7CFF 00000440
	buffer_load_dword v27, s[12:15], s60 offen lds             // 000000003F28: E0511000 3C03001B
	s_add_i32 s60, s43, s60                                    // 000000003F30: 813C3C2B
	s_mov_b32 m0, s69                                          // 000000003F34: BEFC0045
	buffer_load_dword v16, s[12:15], s60 offen lds             // 000000003F38: E0511000 3C030010
	s_add_u32 m0, 0x440, m0                                    // 000000003F40: 807C7CFF 00000440
	buffer_load_dword v17, s[12:15], s60 offen lds             // 000000003F48: E0511000 3C030011
	s_add_u32 m0, 0x440, m0                                    // 000000003F50: 807C7CFF 00000440
	buffer_load_dword v18, s[12:15], s60 offen lds             // 000000003F58: E0511000 3C030012
	s_add_u32 m0, 0x440, m0                                    // 000000003F60: 807C7CFF 00000440
	buffer_load_dword v19, s[12:15], s60 offen lds             // 000000003F68: E0511000 3C030013
	s_add_u32 m0, 0x440, m0                                    // 000000003F70: 807C7CFF 00000440
	buffer_load_dword v20, s[12:15], s60 offen lds             // 000000003F78: E0511000 3C030014
	s_add_u32 m0, 0x440, m0                                    // 000000003F80: 807C7CFF 00000440
	buffer_load_dword v21, s[12:15], s60 offen lds             // 000000003F88: E0511000 3C030015
	s_add_u32 m0, 0x440, m0                                    // 000000003F90: 807C7CFF 00000440
	buffer_load_dword v22, s[12:15], s60 offen lds             // 000000003F98: E0511000 3C030016
	s_add_u32 m0, 0x440, m0                                    // 000000003FA0: 807C7CFF 00000440
	buffer_load_dword v23, s[12:15], s60 offen lds             // 000000003FA8: E0511000 3C030017
	s_add_u32 m0, 0x440, m0                                    // 000000003FB0: 807C7CFF 00000440
	buffer_load_dword v24, s[12:15], s60 offen lds             // 000000003FB8: E0511000 3C030018
	s_add_u32 m0, 0x440, m0                                    // 000000003FC0: 807C7CFF 00000440
	buffer_load_dword v25, s[12:15], s60 offen lds             // 000000003FC8: E0511000 3C030019
	s_add_u32 m0, 0x440, m0                                    // 000000003FD0: 807C7CFF 00000440
	buffer_load_dword v26, s[12:15], s60 offen lds             // 000000003FD8: E0511000 3C03001A
	s_add_u32 m0, 0x440, m0                                    // 000000003FE0: 807C7CFF 00000440
	buffer_load_dword v27, s[12:15], s60 offen lds             // 000000003FE8: E0511000 3C03001B
	s_add_i32 s60, s43, s60                                    // 000000003FF0: 813C3C2B
	s_waitcnt vmcnt(24)                                        // 000000003FF4: BF8C4F78
	s_barrier                                                  // 000000003FF8: BF8A0000
	s_cmp_lt_i32 s5, 2                                         // 000000003FFC: BF048205
	s_cbranch_scc1 label_035A                                  // 000000004000: BF850019
	s_nop 0                                                    // 000000004004: BF800000
	ds_read_b128 a[0:3], v2                                    // 000000004008: DBFE0000 00000002
	ds_read_b128 a[4:7], v2 offset:32                          // 000000004010: DBFE0020 04000002
	ds_read_b128 a[8:11], v2 offset:64                         // 000000004018: DBFE0040 08000002
	ds_read_b128 a[12:15], v2 offset:96                        // 000000004020: DBFE0060 0C000002
	ds_read_b128 a[16:19], v2 offset:4352                      // 000000004028: DBFE1100 10000002
	ds_read_b128 a[20:23], v2 offset:4384                      // 000000004030: DBFE1120 14000002
	ds_read_b128 a[24:27], v2 offset:4416                      // 000000004038: DBFE1140 18000002
	ds_read_b128 a[28:31], v2 offset:4448                      // 000000004040: DBFE1160 1C000002
	ds_read_b128 a[32:35], v2 offset:8704                      // 000000004048: DBFE2200 20000002
	ds_read_b128 a[36:39], v2 offset:8736                      // 000000004050: DBFE2220 24000002
	ds_read_b128 a[40:43], v2 offset:8768                      // 000000004058: DBFE2240 28000002
	ds_read_b128 a[44:47], v2 offset:8800                      // 000000004060: DBFE2260 2C000002

0000000000004068 <label_035A>:
	s_waitcnt lgkmcnt(0)                                       // 000000004068: BF8CC07F
	s_barrier                                                  // 00000000406C: BF8A0000
	buffer_load_dword v164, v28, s[16:19], s35 offen           // 000000004070: E0501000 2304A41C
	buffer_load_dword v165, v29, s[16:19], s35 offen           // 000000004078: E0501000 2304A51D
	buffer_load_dword v166, v30, s[16:19], s35 offen           // 000000004080: E0501000 2304A61E
	buffer_load_dword v167, v31, s[16:19], s35 offen           // 000000004088: E0501000 2304A71F
	buffer_load_dword v168, v32, s[16:19], s35 offen           // 000000004090: E0501000 2304A820
	buffer_load_dword v169, v33, s[16:19], s35 offen           // 000000004098: E0501000 2304A921
	buffer_load_dword v170, v34, s[16:19], s35 offen           // 0000000040A0: E0501000 2304AA22
	buffer_load_dword v171, v35, s[16:19], s35 offen           // 0000000040A8: E0501000 2304AB23
	s_add_i32 s35, s44, s35                                    // 0000000040B0: 8123232C
	s_waitcnt vmcnt(20)                                        // 0000000040B4: BF8C4F74
	s_barrier                                                  // 0000000040B8: BF8A0000
	s_nop 0                                                    // 0000000040BC: BF800000
	ds_read_b128 a[48:51], v36                                 // 0000000040C0: DBFE0000 30000024
	ds_read_b128 a[52:55], v36 offset:32                       // 0000000040C8: DBFE0020 34000024
	ds_read_b128 a[56:59], v36 offset:64                       // 0000000040D0: DBFE0040 38000024
	ds_read_b128 a[60:63], v36 offset:96                       // 0000000040D8: DBFE0060 3C000024
	ds_read_b128 a[64:67], v36 offset:4352                     // 0000000040E0: DBFE1100 40000024
	ds_read_b128 a[68:71], v36 offset:4384                     // 0000000040E8: DBFE1120 44000024
	ds_read_b128 a[72:75], v36 offset:4416                     // 0000000040F0: DBFE1140 48000024
	ds_read_b128 a[76:79], v36 offset:4448                     // 0000000040F8: DBFE1160 4C000024
	ds_read_b128 a[80:83], v36 offset:8704                     // 000000004100: DBFE2200 50000024
	ds_read_b128 a[84:87], v36 offset:8736                     // 000000004108: DBFE2220 54000024
	ds_read_b128 a[88:91], v36 offset:8768                     // 000000004110: DBFE2240 58000024
	ds_read_b128 a[92:95], v36 offset:8800                     // 000000004118: DBFE2260 5C000024
	buffer_load_dword v172, v28, s[16:19], s35 offen           // 000000004120: E0501000 2304AC1C
	buffer_load_dword v173, v29, s[16:19], s35 offen           // 000000004128: E0501000 2304AD1D
	buffer_load_dword v174, v30, s[16:19], s35 offen           // 000000004130: E0501000 2304AE1E
	buffer_load_dword v175, v31, s[16:19], s35 offen           // 000000004138: E0501000 2304AF1F
	buffer_load_dword v176, v32, s[16:19], s35 offen           // 000000004140: E0501000 2304B020
	buffer_load_dword v177, v33, s[16:19], s35 offen           // 000000004148: E0501000 2304B121
	buffer_load_dword v178, v34, s[16:19], s35 offen           // 000000004150: E0501000 2304B222
	buffer_load_dword v179, v35, s[16:19], s35 offen           // 000000004158: E0501000 2304B323
	s_add_i32 s35, s44, s35                                    // 000000004160: 8123232C
	s_waitcnt vmcnt(8) lgkmcnt(0)                              // 000000004164: BF8C0078
	s_barrier                                                  // 000000004168: BF8A0000
	v_mfma_f32_32x32x8_bf16 v[68:83], a[48:49], a[0:1], 0      // 00000000416C: D3E00044 1A020130
	s_mov_b32 m0, s68                                          // 000000004174: BEFC0044
	buffer_load_dword v16, s[12:15], s60 offen lds             // 000000004178: E0511000 3C030010
	v_perm_b32 v180, v165, v164, s50                           // 000000004180: D1ED00B4 00CB49A5
	v_perm_b32 v184, v165, v164, s49                           // 000000004188: D1ED00B8 00C749A5
	v_perm_b32 v181, v167, v166, s50                           // 000000004190: D1ED00B5 00CB4DA7
	v_perm_b32 v185, v167, v166, s49                           // 000000004198: D1ED00B9 00C74DA7
	v_mfma_f32_32x32x8_bf16 v[68:83], a[50:51], a[2:3], v[68:83]// 0000000041A0: D3E00044 1D120532
	v_perm_b32 v182, v169, v168, s50                           // 0000000041A8: D1ED00B6 00CB51A9
	v_perm_b32 v186, v169, v168, s49                           // 0000000041B0: D1ED00BA 00C751A9
	v_perm_b32 v183, v171, v170, s50                           // 0000000041B8: D1ED00B7 00CB55AB
	v_perm_b32 v187, v171, v170, s49                           // 0000000041C0: D1ED00BB 00C755AB
	v_mfma_f32_32x32x8_bf16 v[68:83], a[52:53], a[4:5], v[68:83]// 0000000041C8: D3E00044 1D120934
	s_add_u32 m0, 0x440, m0                                    // 0000000041D0: 807C7CFF 00000440
	buffer_load_dword v17, s[12:15], s60 offen lds             // 0000000041D8: E0511000 3C030011
	v_mfma_f32_32x32x8_bf16 v[68:83], a[54:55], a[6:7], v[68:83]// 0000000041E0: D3E00044 1D120D36
	ds_write_b128 v38, v[180:183] offset:26112                 // 0000000041E8: D9BE6600 0000B426
	ds_write_b128 v38, v[184:187] offset:30272                 // 0000000041F0: D9BE7640 0000B826
	v_mfma_f32_32x32x8_bf16 v[68:83], a[56:57], a[8:9], v[68:83]// 0000000041F8: D3E00044 1D121138
	s_add_u32 m0, 0x440, m0                                    // 000000004200: 807C7CFF 00000440
	buffer_load_dword v18, s[12:15], s60 offen lds             // 000000004208: E0511000 3C030012
	v_mfma_f32_32x32x8_bf16 v[68:83], a[58:59], a[10:11], v[68:83]// 000000004210: D3E00044 1D12153A
	ds_read_b128 a[96:99], v36 offset:13056                    // 000000004218: DBFE3300 60000024
	ds_read_b128 a[100:103], v36 offset:13088                  // 000000004220: DBFE3320 64000024
	v_mfma_f32_32x32x8_bf16 v[68:83], a[60:61], a[12:13], v[68:83]// 000000004228: D3E00044 1D12193C
	s_add_u32 m0, 0x440, m0                                    // 000000004230: 807C7CFF 00000440
	buffer_load_dword v19, s[12:15], s60 offen lds             // 000000004238: E0511000 3C030013
	v_mfma_f32_32x32x8_bf16 v[68:83], a[62:63], a[14:15], v[68:83]// 000000004240: D3E00044 1D121D3E
	ds_read_b128 a[104:107], v36 offset:13120                  // 000000004248: DBFE3340 68000024
	ds_read_b128 a[108:111], v36 offset:13152                  // 000000004250: DBFE3360 6C000024
	v_mfma_f32_32x32x8_bf16 v[68:83], a[64:65], a[16:17], v[68:83]// 000000004258: D3E00044 1D122140
	s_add_u32 m0, 0x440, m0                                    // 000000004260: 807C7CFF 00000440
	buffer_load_dword v20, s[12:15], s60 offen lds             // 000000004268: E0511000 3C030014
	v_mfma_f32_32x32x8_bf16 v[68:83], a[66:67], a[18:19], v[68:83]// 000000004270: D3E00044 1D122542
	ds_read_b128 a[112:115], v36 offset:17408                  // 000000004278: DBFE4400 70000024
	ds_read_b128 a[116:119], v36 offset:17440                  // 000000004280: DBFE4420 74000024
	v_mfma_f32_32x32x8_bf16 v[68:83], a[68:69], a[20:21], v[68:83]// 000000004288: D3E00044 1D122944
	s_add_u32 m0, 0x440, m0                                    // 000000004290: 807C7CFF 00000440
	buffer_load_dword v21, s[12:15], s60 offen lds             // 000000004298: E0511000 3C030015
	v_mfma_f32_32x32x8_bf16 v[68:83], a[70:71], a[22:23], v[68:83]// 0000000042A0: D3E00044 1D122D46
	ds_read_b128 a[120:123], v36 offset:17472                  // 0000000042A8: DBFE4440 78000024
	ds_read_b128 a[124:127], v36 offset:17504                  // 0000000042B0: DBFE4460 7C000024
	v_mfma_f32_32x32x8_bf16 v[68:83], a[72:73], a[24:25], v[68:83]// 0000000042B8: D3E00044 1D123148
	s_add_u32 m0, 0x440, m0                                    // 0000000042C0: 807C7CFF 00000440
	buffer_load_dword v22, s[12:15], s60 offen lds             // 0000000042C8: E0511000 3C030016
	v_mfma_f32_32x32x8_bf16 v[68:83], a[74:75], a[26:27], v[68:83]// 0000000042D0: D3E00044 1D12354A
	ds_read_b128 a[128:131], v36 offset:21760                  // 0000000042D8: DBFE5500 80000024
	ds_read_b128 a[132:135], v36 offset:21792                  // 0000000042E0: DBFE5520 84000024
	v_mfma_f32_32x32x8_bf16 v[68:83], a[76:77], a[28:29], v[68:83]// 0000000042E8: D3E00044 1D12394C
	s_add_u32 m0, 0x440, m0                                    // 0000000042F0: 807C7CFF 00000440
	buffer_load_dword v23, s[12:15], s60 offen lds             // 0000000042F8: E0511000 3C030017
	v_mfma_f32_32x32x8_bf16 v[68:83], a[78:79], a[30:31], v[68:83]// 000000004300: D3E00044 1D123D4E
	ds_read_b128 a[136:139], v36 offset:21824                  // 000000004308: DBFE5540 88000024
	ds_read_b128 a[140:143], v36 offset:21856                  // 000000004310: DBFE5560 8C000024
	v_mfma_f32_32x32x8_bf16 v[68:83], a[80:81], a[32:33], v[68:83]// 000000004318: D3E00044 1D124150
	s_add_u32 m0, 0x440, m0                                    // 000000004320: 807C7CFF 00000440
	buffer_load_dword v24, s[12:15], s60 offen lds             // 000000004328: E0511000 3C030018
	v_mfma_f32_32x32x8_bf16 v[68:83], a[82:83], a[34:35], v[68:83]// 000000004330: D3E00044 1D124552
	v_mfma_f32_32x32x8_bf16 v[68:83], a[84:85], a[36:37], v[68:83]// 000000004338: D3E00044 1D124954
	s_add_u32 m0, 0x440, m0                                    // 000000004340: 807C7CFF 00000440
	buffer_load_dword v25, s[12:15], s60 offen lds             // 000000004348: E0511000 3C030019
	v_mfma_f32_32x32x8_bf16 v[68:83], a[86:87], a[38:39], v[68:83]// 000000004350: D3E00044 1D124D56
	v_mfma_f32_32x32x8_bf16 v[68:83], a[88:89], a[40:41], v[68:83]// 000000004358: D3E00044 1D125158
	s_add_u32 m0, 0x440, m0                                    // 000000004360: 807C7CFF 00000440
	buffer_load_dword v26, s[12:15], s60 offen lds             // 000000004368: E0511000 3C03001A
	v_mfma_f32_32x32x8_bf16 v[68:83], a[90:91], a[42:43], v[68:83]// 000000004370: D3E00044 1D12555A
	v_mfma_f32_32x32x8_bf16 v[68:83], a[92:93], a[44:45], v[68:83]// 000000004378: D3E00044 1D12595C
	s_add_u32 m0, 0x440, m0                                    // 000000004380: 807C7CFF 00000440
	buffer_load_dword v27, s[12:15], s60 offen lds             // 000000004388: E0511000 3C03001B
	v_mfma_f32_32x32x8_bf16 v[68:83], a[94:95], a[46:47], v[68:83]// 000000004390: D3E00044 1D125D5E
	s_add_i32 s60, s43, s60                                    // 000000004398: 813C3C2B
	s_waitcnt vmcnt(12) lgkmcnt(0)                             // 00000000439C: BF8C007C
	s_barrier                                                  // 0000000043A0: BF8A0000
	v_perm_b32 v188, v173, v172, s50                           // 0000000043A4: D1ED00BC 00CB59AD
	v_perm_b32 v192, v173, v172, s49                           // 0000000043AC: D1ED00C0 00C759AD
	v_perm_b32 v189, v175, v174, s50                           // 0000000043B4: D1ED00BD 00CB5DAF
	v_perm_b32 v193, v175, v174, s49                           // 0000000043BC: D1ED00C1 00C75DAF
	v_perm_b32 v190, v177, v176, s50                           // 0000000043C4: D1ED00BE 00CB61B1
	v_perm_b32 v194, v177, v176, s49                           // 0000000043CC: D1ED00C2 00C761B1
	v_perm_b32 v191, v179, v178, s50                           // 0000000043D4: D1ED00BF 00CB65B3
	v_perm_b32 v195, v179, v178, s49                           // 0000000043DC: D1ED00C3 00C765B3
	buffer_load_dword v164, v28, s[16:19], s35 offen           // 0000000043E4: E0501000 2304A41C
	buffer_load_dword v165, v29, s[16:19], s35 offen           // 0000000043EC: E0501000 2304A51D
	buffer_load_dword v166, v30, s[16:19], s35 offen           // 0000000043F4: E0501000 2304A61E
	buffer_load_dword v167, v31, s[16:19], s35 offen           // 0000000043FC: E0501000 2304A71F
	buffer_load_dword v168, v32, s[16:19], s35 offen           // 000000004404: E0501000 2304A820
	buffer_load_dword v169, v33, s[16:19], s35 offen           // 00000000440C: E0501000 2304A921
	buffer_load_dword v170, v34, s[16:19], s35 offen           // 000000004414: E0501000 2304AA22
	buffer_load_dword v171, v35, s[16:19], s35 offen           // 00000000441C: E0501000 2304AB23
	s_add_i32 s35, s44, s35                                    // 000000004424: 8123232C
	ds_read_b128 a[144:147], v37 offset:26112                  // 000000004428: DBFE6600 90000025
	ds_read_b128 a[148:151], v37 offset:28160                  // 000000004430: DBFE6E00 94000025
	ds_read_b128 a[152:155], v37 offset:26368                  // 000000004438: DBFE6700 98000025
	ds_read_b128 a[156:159], v37 offset:28416                  // 000000004440: DBFE6F00 9C000025
	ds_read_b128 a[160:163], v37 offset:26624                  // 000000004448: DBFE6800 A0000025
	ds_read_b128 a[164:167], v37 offset:28672                  // 000000004450: DBFE7000 A4000025
	ds_read_b128 a[168:171], v37 offset:26880                  // 000000004458: DBFE6900 A8000025
	ds_read_b128 a[172:175], v37 offset:28928                  // 000000004460: DBFE7100 AC000025
	s_nop 0                                                    // 000000004468: BF800000
	s_cmp_lt_i32 s52, s51                                      // 00000000446C: BF043334
	s_cbranch_scc1 label_04EA                                  // 000000004470: BF85008D
	s_nop 0                                                    // 000000004474: BF800000
	s_sub_i32 s40, s51, s52                                    // 000000004478: 81A83433
	s_sub_i32 s41, s7, s30                                     // 00000000447C: 81A91E07
	s_and_b32 s41, s41, 31                                     // 000000004480: 86299F29
	s_add_i32 s40, s40, s41                                    // 000000004484: 81282928
	v_add_i32 v40, v53, s40                                    // 000000004488: D29C0028 00005135
	v_cmp_lt_i32_e64 s[72:73], v40, 0                          // 000000004490: D0C10048 00010128
	v_cmp_lt_i32_e64 s[74:75], v40, 1                          // 000000004498: D0C1004A 00010328
	v_cndmask_b32_e64 v68, v68, v55, s[72:73]                  // 0000000044A0: D1000044 01226F44
	v_cndmask_b32_e64 v69, v69, v55, s[74:75]                  // 0000000044A8: D1000045 012A6F45
	v_cmp_lt_i32_e64 s[72:73], v40, 2                          // 0000000044B0: D0C10048 00010528
	v_cmp_lt_i32_e64 s[74:75], v40, 3                          // 0000000044B8: D0C1004A 00010728
	v_cndmask_b32_e64 v70, v70, v55, s[72:73]                  // 0000000044C0: D1000046 01226F46
	v_cndmask_b32_e64 v71, v71, v55, s[74:75]                  // 0000000044C8: D1000047 012A6F47
	v_cmp_lt_i32_e64 s[72:73], v40, 8                          // 0000000044D0: D0C10048 00011128
	v_cmp_lt_i32_e64 s[74:75], v40, 9                          // 0000000044D8: D0C1004A 00011328
	v_cndmask_b32_e64 v72, v72, v55, s[72:73]                  // 0000000044E0: D1000048 01226F48
	v_cndmask_b32_e64 v73, v73, v55, s[74:75]                  // 0000000044E8: D1000049 012A6F49
	v_cmp_lt_i32_e64 s[72:73], v40, 10                         // 0000000044F0: D0C10048 00011528
	v_cmp_lt_i32_e64 s[74:75], v40, 11                         // 0000000044F8: D0C1004A 00011728
	v_cndmask_b32_e64 v74, v74, v55, s[72:73]                  // 000000004500: D100004A 01226F4A
	v_cndmask_b32_e64 v75, v75, v55, s[74:75]                  // 000000004508: D100004B 012A6F4B
	v_cmp_lt_i32_e64 s[72:73], v40, 16                         // 000000004510: D0C10048 00012128
	v_cmp_lt_i32_e64 s[74:75], v40, 17                         // 000000004518: D0C1004A 00012328
	v_cndmask_b32_e64 v76, v76, v55, s[72:73]                  // 000000004520: D100004C 01226F4C
	v_cndmask_b32_e64 v77, v77, v55, s[74:75]                  // 000000004528: D100004D 012A6F4D
	v_cmp_lt_i32_e64 s[72:73], v40, 18                         // 000000004530: D0C10048 00012528
	v_cmp_lt_i32_e64 s[74:75], v40, 19                         // 000000004538: D0C1004A 00012728
	v_cndmask_b32_e64 v78, v78, v55, s[72:73]                  // 000000004540: D100004E 01226F4E
	v_cndmask_b32_e64 v79, v79, v55, s[74:75]                  // 000000004548: D100004F 012A6F4F
	v_cmp_lt_i32_e64 s[72:73], v40, 24                         // 000000004550: D0C10048 00013128
	v_cmp_lt_i32_e64 s[74:75], v40, 25                         // 000000004558: D0C1004A 00013328
	v_cndmask_b32_e64 v80, v80, v55, s[72:73]                  // 000000004560: D1000050 01226F50
	v_cndmask_b32_e64 v81, v81, v55, s[74:75]                  // 000000004568: D1000051 012A6F51
	v_cmp_lt_i32_e64 s[72:73], v40, 26                         // 000000004570: D0C10048 00013528
	v_cmp_lt_i32_e64 s[74:75], v40, 27                         // 000000004578: D0C1004A 00013728
	v_cndmask_b32_e64 v82, v82, v55, s[72:73]                  // 000000004580: D1000052 01226F52
	v_cndmask_b32_e64 v83, v83, v55, s[74:75]                  // 000000004588: D1000053 012A6F53
	s_nop 0                                                    // 000000004590: BF800000
	s_cmp_lt_i32 s52, s54                                      // 000000004594: BF043634
	s_cbranch_scc1 label_04EA                                  // 000000004598: BF850043
	s_sub_i32 s40, s7, s52                                     // 00000000459C: 81A83407
	v_sub_i32 v40, s40, v54                                    // 0000000045A0: D29D0028 00026C28
	v_cmp_lt_i32_e64 s[72:73], 0, v40                          // 0000000045A8: D0C10048 00025080
	v_cmp_lt_i32_e64 s[74:75], 1, v40                          // 0000000045B0: D0C1004A 00025081
	v_cndmask_b32_e64 v68, v55, v68, s[72:73]                  // 0000000045B8: D1000044 01228937
	v_cndmask_b32_e64 v69, v55, v69, s[74:75]                  // 0000000045C0: D1000045 012A8B37
	v_cmp_lt_i32_e64 s[72:73], 2, v40                          // 0000000045C8: D0C10048 00025082
	v_cmp_lt_i32_e64 s[74:75], 3, v40                          // 0000000045D0: D0C1004A 00025083
	v_cndmask_b32_e64 v70, v55, v70, s[72:73]                  // 0000000045D8: D1000046 01228D37
	v_cndmask_b32_e64 v71, v55, v71, s[74:75]                  // 0000000045E0: D1000047 012A8F37
	v_cmp_lt_i32_e64 s[72:73], 8, v40                          // 0000000045E8: D0C10048 00025088
	v_cmp_lt_i32_e64 s[74:75], 9, v40                          // 0000000045F0: D0C1004A 00025089
	v_cndmask_b32_e64 v72, v55, v72, s[72:73]                  // 0000000045F8: D1000048 01229137
	v_cndmask_b32_e64 v73, v55, v73, s[74:75]                  // 000000004600: D1000049 012A9337
	v_cmp_lt_i32_e64 s[72:73], 10, v40                         // 000000004608: D0C10048 0002508A
	v_cmp_lt_i32_e64 s[74:75], 11, v40                         // 000000004610: D0C1004A 0002508B
	v_cndmask_b32_e64 v74, v55, v74, s[72:73]                  // 000000004618: D100004A 01229537
	v_cndmask_b32_e64 v75, v55, v75, s[74:75]                  // 000000004620: D100004B 012A9737
	v_cmp_lt_i32_e64 s[72:73], 16, v40                         // 000000004628: D0C10048 00025090
	v_cmp_lt_i32_e64 s[74:75], 17, v40                         // 000000004630: D0C1004A 00025091
	v_cndmask_b32_e64 v76, v55, v76, s[72:73]                  // 000000004638: D100004C 01229937
	v_cndmask_b32_e64 v77, v55, v77, s[74:75]                  // 000000004640: D100004D 012A9B37
	v_cmp_lt_i32_e64 s[72:73], 18, v40                         // 000000004648: D0C10048 00025092
	v_cmp_lt_i32_e64 s[74:75], 19, v40                         // 000000004650: D0C1004A 00025093
	v_cndmask_b32_e64 v78, v55, v78, s[72:73]                  // 000000004658: D100004E 01229D37
	v_cndmask_b32_e64 v79, v55, v79, s[74:75]                  // 000000004660: D100004F 012A9F37
	v_cmp_lt_i32_e64 s[72:73], 24, v40                         // 000000004668: D0C10048 00025098
	v_cmp_lt_i32_e64 s[74:75], 25, v40                         // 000000004670: D0C1004A 00025099
	v_cndmask_b32_e64 v80, v55, v80, s[72:73]                  // 000000004678: D1000050 0122A137
	v_cndmask_b32_e64 v81, v55, v81, s[74:75]                  // 000000004680: D1000051 012AA337
	v_cmp_lt_i32_e64 s[72:73], 26, v40                         // 000000004688: D0C10048 0002509A
	v_cmp_lt_i32_e64 s[74:75], 27, v40                         // 000000004690: D0C1004A 0002509B
	v_cndmask_b32_e64 v82, v55, v82, s[72:73]                  // 000000004698: D1000052 0122A537
	v_cndmask_b32_e64 v83, v55, v83, s[74:75]                  // 0000000046A0: D1000053 012AA737

00000000000046a8 <label_04EA>:
	v_max3_f32 v49, v68, v69, v52                              // 0000000046A8: D1D30031 04D28B44
	v_max3_f32 v49, v70, v71, v49                              // 0000000046B0: D1D30031 04C68F46
	v_max3_f32 v49, v72, v73, v49                              // 0000000046B8: D1D30031 04C69348
	v_max3_f32 v49, v74, v75, v49                              // 0000000046C0: D1D30031 04C6974A
	v_max3_f32 v49, v76, v77, v49                              // 0000000046C8: D1D30031 04C69B4C
	v_max3_f32 v49, v78, v79, v49                              // 0000000046D0: D1D30031 04C69F4E
	v_max3_f32 v49, v80, v81, v49                              // 0000000046D8: D1D30031 04C6A350
	v_max3_f32 v49, v82, v83, v49                              // 0000000046E0: D1D30031 04C6A752
	ds_permute_b32 v48, v56, v49                               // 0000000046E8: D87C0000 30003138
	s_waitcnt lgkmcnt(0)                                       // 0000000046F0: BF8CC07F
	s_nop 0                                                    // 0000000046F4: BF800000
	v_max_f32_e32 v49, v48, v49                                // 0000000046F8: 16626330
	v_mov_b32_e32 v44, 0                                       // 0000000046FC: 7E580280
	v_mov_b32_e32 v52, v49                                     // 000000004700: 7E680331
	v_mul_f32_e32 v51, s56, v49                                // 000000004704: 0A666238
	v_mul_f32_e32 v44, s56, v44                                // 000000004708: 0A585838
	v_exp_f32_e32 v44, v44                                     // 00000000470C: 7E58412C
	v_add_f32_e64 v60, 0, -v51                                 // 000000004710: D101003C 40026680
	v_mov_b32_e32 v61, v60                                     // 000000004718: 7E7A033C
	s_nop 0                                                    // 00000000471C: BF800000
	v_pk_fma_f32 v[68:69], v[68:69], s[56:57], v[60:61]        // 000000004720: D3B04044 1CF07144
	v_pk_fma_f32 v[70:71], v[70:71], s[56:57], v[60:61]        // 000000004728: D3B04046 1CF07146
	v_pk_fma_f32 v[72:73], v[72:73], s[56:57], v[60:61]        // 000000004730: D3B04048 1CF07148
	v_pk_fma_f32 v[74:75], v[74:75], s[56:57], v[60:61]        // 000000004738: D3B0404A 1CF0714A
	v_pk_fma_f32 v[76:77], v[76:77], s[56:57], v[60:61]        // 000000004740: D3B0404C 1CF0714C
	v_pk_fma_f32 v[78:79], v[78:79], s[56:57], v[60:61]        // 000000004748: D3B0404E 1CF0714E
	v_pk_fma_f32 v[80:81], v[80:81], s[56:57], v[60:61]        // 000000004750: D3B04050 1CF07150
	v_pk_fma_f32 v[82:83], v[82:83], s[56:57], v[60:61]        // 000000004758: D3B04052 1CF07152
	s_nop 0                                                    // 000000004760: BF800000
	s_addk_i32 s39, 0x20                                       // 000000004764: B7270020
	s_add_i32 s52, s52, s53                                    // 000000004768: 81343534
	s_cmp_lt_i32 s39, s38                                      // 00000000476C: BF042627
	s_cbranch_scc0 label_0F5A                                  // 000000004770: BF840A3D
	s_cmp_lt_i32 s5, 2                                         // 000000004774: BF048205
	s_cbranch_scc0 label_0A3C                                  // 000000004778: BF84051D

000000000000477c <label_051F>:
	s_waitcnt vmcnt(8) lgkmcnt(8)                              // 00000000477C: BF8C0878
	s_barrier                                                  // 000000004780: BF8A0000
	v_mfma_f32_32x32x8_bf16 v[84:99], a[96:97], a[0:1], 0      // 000000004784: D3E00054 1A020160
	s_mov_b32 m0, s69                                          // 00000000478C: BEFC0045
	buffer_load_dword v16, s[12:15], s60 offen lds             // 000000004790: E0511000 3C030010
	ds_write_b128 v38, v[188:191] offset:34432                 // 000000004798: D9BE8680 0000BC26
	v_mfma_f32_32x32x8_bf16 v[84:99], a[98:99], a[2:3], v[84:99]// 0000000047A0: D3E00054 1D520562
	v_mfma_f32_32x32x8_bf16 v[84:99], a[100:101], a[4:5], v[84:99]// 0000000047A8: D3E00054 1D520964
	s_add_u32 m0, 0x440, m0                                    // 0000000047B0: 807C7CFF 00000440
	buffer_load_dword v17, s[12:15], s60 offen lds             // 0000000047B8: E0511000 3C030011
	ds_write_b128 v38, v[192:195] offset:38592                 // 0000000047C0: D9BE96C0 0000C026
	v_mfma_f32_32x32x8_bf16 v[84:99], a[102:103], a[6:7], v[84:99]// 0000000047C8: D3E00054 1D520D66
	v_mfma_f32_32x32x8_bf16 v[84:99], a[104:105], a[8:9], v[84:99]// 0000000047D0: D3E00054 1D521168
	s_add_u32 m0, 0x440, m0                                    // 0000000047D8: 807C7CFF 00000440
	buffer_load_dword v18, s[12:15], s60 offen lds             // 0000000047E0: E0511000 3C030012
	ds_read_b128 a[48:51], v36                                 // 0000000047E8: DBFE0000 30000024
	ds_read_b128 a[52:55], v36 offset:32                       // 0000000047F0: DBFE0020 34000024
	v_mfma_f32_32x32x8_bf16 v[84:99], a[106:107], a[10:11], v[84:99]// 0000000047F8: D3E00054 1D52156A
	v_mfma_f32_32x32x8_bf16 v[84:99], a[108:109], a[12:13], v[84:99]// 000000004800: D3E00054 1D52196C
	s_add_u32 m0, 0x440, m0                                    // 000000004808: 807C7CFF 00000440
	buffer_load_dword v19, s[12:15], s60 offen lds             // 000000004810: E0511000 3C030013
	ds_read_b128 a[56:59], v36 offset:64                       // 000000004818: DBFE0040 38000024
	ds_read_b128 a[60:63], v36 offset:96                       // 000000004820: DBFE0060 3C000024
	v_mfma_f32_32x32x8_bf16 v[84:99], a[110:111], a[14:15], v[84:99]// 000000004828: D3E00054 1D521D6E
	v_mfma_f32_32x32x8_bf16 v[84:99], a[112:113], a[16:17], v[84:99]// 000000004830: D3E00054 1D522170
	s_add_u32 m0, 0x440, m0                                    // 000000004838: 807C7CFF 00000440
	buffer_load_dword v20, s[12:15], s60 offen lds             // 000000004840: E0511000 3C030014
	ds_read_b128 a[64:67], v36 offset:4352                     // 000000004848: DBFE1100 40000024
	ds_read_b128 a[68:71], v36 offset:4384                     // 000000004850: DBFE1120 44000024
	v_mfma_f32_32x32x8_bf16 v[84:99], a[114:115], a[18:19], v[84:99]// 000000004858: D3E00054 1D522572
	v_mfma_f32_32x32x8_bf16 v[84:99], a[116:117], a[20:21], v[84:99]// 000000004860: D3E00054 1D522974
	s_add_u32 m0, 0x440, m0                                    // 000000004868: 807C7CFF 00000440
	buffer_load_dword v21, s[12:15], s60 offen lds             // 000000004870: E0511000 3C030015
	ds_read_b128 a[72:75], v36 offset:4416                     // 000000004878: DBFE1140 48000024
	ds_read_b128 a[76:79], v36 offset:4448                     // 000000004880: DBFE1160 4C000024
	v_mfma_f32_32x32x8_bf16 v[84:99], a[118:119], a[22:23], v[84:99]// 000000004888: D3E00054 1D522D76
	v_mfma_f32_32x32x8_bf16 v[84:99], a[120:121], a[24:25], v[84:99]// 000000004890: D3E00054 1D523178
	s_add_u32 m0, 0x440, m0                                    // 000000004898: 807C7CFF 00000440
	buffer_load_dword v22, s[12:15], s60 offen lds             // 0000000048A0: E0511000 3C030016
	ds_read_b128 a[80:83], v36 offset:8704                     // 0000000048A8: DBFE2200 50000024
	ds_read_b128 a[84:87], v36 offset:8736                     // 0000000048B0: DBFE2220 54000024
	v_mfma_f32_32x32x8_bf16 v[84:99], a[122:123], a[26:27], v[84:99]// 0000000048B8: D3E00054 1D52357A
	v_mfma_f32_32x32x8_bf16 v[84:99], a[124:125], a[28:29], v[84:99]// 0000000048C0: D3E00054 1D52397C
	s_add_u32 m0, 0x440, m0                                    // 0000000048C8: 807C7CFF 00000440
	buffer_load_dword v23, s[12:15], s60 offen lds             // 0000000048D0: E0511000 3C030017
	ds_read_b128 a[88:91], v36 offset:8768                     // 0000000048D8: DBFE2240 58000024
	ds_read_b128 a[92:95], v36 offset:8800                     // 0000000048E0: DBFE2260 5C000024
	v_mfma_f32_32x32x8_bf16 v[84:99], a[126:127], a[30:31], v[84:99]// 0000000048E8: D3E00054 1D523D7E
	v_mfma_f32_32x32x8_bf16 v[84:99], a[128:129], a[32:33], v[84:99]// 0000000048F0: D3E00054 1D524180
	s_add_u32 m0, 0x440, m0                                    // 0000000048F8: 807C7CFF 00000440
	buffer_load_dword v24, s[12:15], s60 offen lds             // 000000004900: E0511000 3C030018
	v_mfma_f32_32x32x8_bf16 v[84:99], a[130:131], a[34:35], v[84:99]// 000000004908: D3E00054 1D524582
	v_mfma_f32_32x32x8_bf16 v[84:99], a[132:133], a[36:37], v[84:99]// 000000004910: D3E00054 1D524984
	s_add_u32 m0, 0x440, m0                                    // 000000004918: 807C7CFF 00000440
	buffer_load_dword v25, s[12:15], s60 offen lds             // 000000004920: E0511000 3C030019
	v_mfma_f32_32x32x8_bf16 v[84:99], a[134:135], a[38:39], v[84:99]// 000000004928: D3E00054 1D524D86
	v_mfma_f32_32x32x8_bf16 v[84:99], a[136:137], a[40:41], v[84:99]// 000000004930: D3E00054 1D525188
	s_add_u32 m0, 0x440, m0                                    // 000000004938: 807C7CFF 00000440
	buffer_load_dword v26, s[12:15], s60 offen lds             // 000000004940: E0511000 3C03001A
	v_mfma_f32_32x32x8_bf16 v[84:99], a[138:139], a[42:43], v[84:99]// 000000004948: D3E00054 1D52558A
	v_mfma_f32_32x32x8_bf16 v[84:99], a[140:141], a[44:45], v[84:99]// 000000004950: D3E00054 1D52598C
	s_add_u32 m0, 0x440, m0                                    // 000000004958: 807C7CFF 00000440
	buffer_load_dword v27, s[12:15], s60 offen lds             // 000000004960: E0511000 3C03001B
	s_nop 0                                                    // 000000004968: BF800000
	v_exp_f32_e32 v68, v68                                     // 00000000496C: 7E884144
	v_exp_f32_e32 v69, v69                                     // 000000004970: 7E8A4145
	v_exp_f32_e32 v70, v70                                     // 000000004974: 7E8C4146
	v_exp_f32_e32 v71, v71                                     // 000000004978: 7E8E4147
	v_exp_f32_e32 v72, v72                                     // 00000000497C: 7E904148
	v_exp_f32_e32 v73, v73                                     // 000000004980: 7E924149
	v_exp_f32_e32 v74, v74                                     // 000000004984: 7E94414A
	v_exp_f32_e32 v75, v75                                     // 000000004988: 7E96414B
	v_exp_f32_e32 v76, v76                                     // 00000000498C: 7E98414C
	v_exp_f32_e32 v77, v77                                     // 000000004990: 7E9A414D
	v_exp_f32_e32 v78, v78                                     // 000000004994: 7E9C414E
	v_exp_f32_e32 v79, v79                                     // 000000004998: 7E9E414F
	v_exp_f32_e32 v80, v80                                     // 00000000499C: 7EA04150
	v_exp_f32_e32 v81, v81                                     // 0000000049A0: 7EA24151
	v_exp_f32_e32 v82, v82                                     // 0000000049A4: 7EA44152
	v_exp_f32_e32 v83, v83                                     // 0000000049A8: 7EA64153
	v_mul_f32_e32 v46, v44, v46                                // 0000000049AC: 0A5C5D2C
	v_pk_add_f32 v[62:63], v[68:69], v[70:71]                  // 0000000049B0: D3B2403E 18028D44
	v_pk_add_f32 v[62:63], v[72:73], v[62:63]                  // 0000000049B8: D3B2403E 18027D48
	v_pk_add_f32 v[62:63], v[74:75], v[62:63]                  // 0000000049C0: D3B2403E 18027D4A
	v_pk_add_f32 v[62:63], v[76:77], v[62:63]                  // 0000000049C8: D3B2403E 18027D4C
	v_pk_add_f32 v[62:63], v[78:79], v[62:63]                  // 0000000049D0: D3B2403E 18027D4E
	v_pk_add_f32 v[62:63], v[80:81], v[62:63]                  // 0000000049D8: D3B2403E 18027D50
	v_pk_add_f32 v[62:63], v[82:83], v[62:63]                  // 0000000049E0: D3B2403E 18027D52
	v_add_f32_e32 v62, v62, v63                                // 0000000049E8: 027C7F3E
	v_add_f32_e32 v46, v62, v46                                // 0000000049EC: 025C5D3E
	v_cmp_u_f32_e64 s[70:71], v68, v68                         // 0000000049F0: D0480046 00028944
	v_bfe_u32 v64, v68, 16, 1                                  // 0000000049F8: D1C80040 02052144
	v_add3_u32 v64, v68, v64, v67                              // 000000004A00: D1FF0040 050E8144
	v_cndmask_b32_e64 v40, v64, v66, s[70:71]                  // 000000004A08: D1000028 011A8540
	v_lshrrev_b32_e32 v40, 16, v40                             // 000000004A10: 20505090
	v_cmp_u_f32_e64 s[70:71], v69, v69                         // 000000004A14: D0480046 00028B45
	v_bfe_u32 v64, v69, 16, 1                                  // 000000004A1C: D1C80040 02052145
	v_add3_u32 v64, v69, v64, v67                              // 000000004A24: D1FF0040 050E8145
	v_cndmask_b32_e64 v41, v64, v66, s[70:71]                  // 000000004A2C: D1000029 011A8540
	v_and_or_b32 v68, v41, v65, v40                            // 000000004A34: D2010044 04A28329
	v_cmp_u_f32_e64 s[70:71], v70, v70                         // 000000004A3C: D0480046 00028D46
	v_bfe_u32 v64, v70, 16, 1                                  // 000000004A44: D1C80040 02052146
	v_add3_u32 v64, v70, v64, v67                              // 000000004A4C: D1FF0040 050E8146
	v_cndmask_b32_e64 v40, v64, v66, s[70:71]                  // 000000004A54: D1000028 011A8540
	v_lshrrev_b32_e32 v40, 16, v40                             // 000000004A5C: 20505090
	v_cmp_u_f32_e64 s[70:71], v71, v71                         // 000000004A60: D0480046 00028F47
	v_bfe_u32 v64, v71, 16, 1                                  // 000000004A68: D1C80040 02052147
	v_add3_u32 v64, v71, v64, v67                              // 000000004A70: D1FF0040 050E8147
	v_cndmask_b32_e64 v41, v64, v66, s[70:71]                  // 000000004A78: D1000029 011A8540
	v_and_or_b32 v69, v41, v65, v40                            // 000000004A80: D2010045 04A28329
	v_cmp_u_f32_e64 s[70:71], v72, v72                         // 000000004A88: D0480046 00029148
	v_bfe_u32 v64, v72, 16, 1                                  // 000000004A90: D1C80040 02052148
	v_add3_u32 v64, v72, v64, v67                              // 000000004A98: D1FF0040 050E8148
	v_cndmask_b32_e64 v40, v64, v66, s[70:71]                  // 000000004AA0: D1000028 011A8540
	v_lshrrev_b32_e32 v40, 16, v40                             // 000000004AA8: 20505090
	v_cmp_u_f32_e64 s[70:71], v73, v73                         // 000000004AAC: D0480046 00029349
	v_bfe_u32 v64, v73, 16, 1                                  // 000000004AB4: D1C80040 02052149
	v_add3_u32 v64, v73, v64, v67                              // 000000004ABC: D1FF0040 050E8149
	v_cndmask_b32_e64 v41, v64, v66, s[70:71]                  // 000000004AC4: D1000029 011A8540
	v_and_or_b32 v70, v41, v65, v40                            // 000000004ACC: D2010046 04A28329
	v_cmp_u_f32_e64 s[70:71], v74, v74                         // 000000004AD4: D0480046 0002954A
	v_bfe_u32 v64, v74, 16, 1                                  // 000000004ADC: D1C80040 0205214A
	v_add3_u32 v64, v74, v64, v67                              // 000000004AE4: D1FF0040 050E814A
	v_cndmask_b32_e64 v40, v64, v66, s[70:71]                  // 000000004AEC: D1000028 011A8540
	v_lshrrev_b32_e32 v40, 16, v40                             // 000000004AF4: 20505090
	v_cmp_u_f32_e64 s[70:71], v75, v75                         // 000000004AF8: D0480046 0002974B
	v_bfe_u32 v64, v75, 16, 1                                  // 000000004B00: D1C80040 0205214B
	v_add3_u32 v64, v75, v64, v67                              // 000000004B08: D1FF0040 050E814B
	v_cndmask_b32_e64 v41, v64, v66, s[70:71]                  // 000000004B10: D1000029 011A8540
	v_and_or_b32 v71, v41, v65, v40                            // 000000004B18: D2010047 04A28329
	v_cmp_u_f32_e64 s[70:71], v76, v76                         // 000000004B20: D0480046 0002994C
	v_bfe_u32 v64, v76, 16, 1                                  // 000000004B28: D1C80040 0205214C
	v_add3_u32 v64, v76, v64, v67                              // 000000004B30: D1FF0040 050E814C
	v_cndmask_b32_e64 v40, v64, v66, s[70:71]                  // 000000004B38: D1000028 011A8540
	v_lshrrev_b32_e32 v40, 16, v40                             // 000000004B40: 20505090
	v_cmp_u_f32_e64 s[70:71], v77, v77                         // 000000004B44: D0480046 00029B4D
	v_bfe_u32 v64, v77, 16, 1                                  // 000000004B4C: D1C80040 0205214D
	v_add3_u32 v64, v77, v64, v67                              // 000000004B54: D1FF0040 050E814D
	v_cndmask_b32_e64 v41, v64, v66, s[70:71]                  // 000000004B5C: D1000029 011A8540
	v_and_or_b32 v72, v41, v65, v40                            // 000000004B64: D2010048 04A28329
	v_cmp_u_f32_e64 s[70:71], v78, v78                         // 000000004B6C: D0480046 00029D4E
	v_bfe_u32 v64, v78, 16, 1                                  // 000000004B74: D1C80040 0205214E
	v_add3_u32 v64, v78, v64, v67                              // 000000004B7C: D1FF0040 050E814E
	v_cndmask_b32_e64 v40, v64, v66, s[70:71]                  // 000000004B84: D1000028 011A8540
	v_lshrrev_b32_e32 v40, 16, v40                             // 000000004B8C: 20505090
	v_cmp_u_f32_e64 s[70:71], v79, v79                         // 000000004B90: D0480046 00029F4F
	v_bfe_u32 v64, v79, 16, 1                                  // 000000004B98: D1C80040 0205214F
	v_add3_u32 v64, v79, v64, v67                              // 000000004BA0: D1FF0040 050E814F
	v_cndmask_b32_e64 v41, v64, v66, s[70:71]                  // 000000004BA8: D1000029 011A8540
	v_and_or_b32 v73, v41, v65, v40                            // 000000004BB0: D2010049 04A28329
	v_cmp_u_f32_e64 s[70:71], v80, v80                         // 000000004BB8: D0480046 0002A150
	v_bfe_u32 v64, v80, 16, 1                                  // 000000004BC0: D1C80040 02052150
	v_add3_u32 v64, v80, v64, v67                              // 000000004BC8: D1FF0040 050E8150
	v_cndmask_b32_e64 v40, v64, v66, s[70:71]                  // 000000004BD0: D1000028 011A8540
	v_lshrrev_b32_e32 v40, 16, v40                             // 000000004BD8: 20505090
	v_cmp_u_f32_e64 s[70:71], v81, v81                         // 000000004BDC: D0480046 0002A351
	v_bfe_u32 v64, v81, 16, 1                                  // 000000004BE4: D1C80040 02052151
	v_add3_u32 v64, v81, v64, v67                              // 000000004BEC: D1FF0040 050E8151
	v_cndmask_b32_e64 v41, v64, v66, s[70:71]                  // 000000004BF4: D1000029 011A8540
	v_and_or_b32 v74, v41, v65, v40                            // 000000004BFC: D201004A 04A28329
	v_cmp_u_f32_e64 s[70:71], v82, v82                         // 000000004C04: D0480046 0002A552
	v_bfe_u32 v64, v82, 16, 1                                  // 000000004C0C: D1C80040 02052152
	v_add3_u32 v64, v82, v64, v67                              // 000000004C14: D1FF0040 050E8152
	v_cndmask_b32_e64 v40, v64, v66, s[70:71]                  // 000000004C1C: D1000028 011A8540
	v_lshrrev_b32_e32 v40, 16, v40                             // 000000004C24: 20505090
	v_cmp_u_f32_e64 s[70:71], v83, v83                         // 000000004C28: D0480046 0002A753
	v_bfe_u32 v64, v83, 16, 1                                  // 000000004C30: D1C80040 02052153
	v_add3_u32 v64, v83, v64, v67                              // 000000004C38: D1FF0040 050E8153
	v_cndmask_b32_e64 v41, v64, v66, s[70:71]                  // 000000004C40: D1000029 011A8540
	v_and_or_b32 v75, v41, v65, v40                            // 000000004C48: D201004B 04A28329
	v_mfma_f32_32x32x8_bf16 v[84:99], a[142:143], a[46:47], v[84:99]// 000000004C50: D3E00054 1D525D8E
	s_add_i32 s60, s43, s60                                    // 000000004C58: 813C3C2B
	s_cmp_lt_i32 s52, s51                                      // 000000004C5C: BF043334
	s_cbranch_scc1 label_06E6                                  // 000000004C60: BF85008D
	s_nop 0                                                    // 000000004C64: BF800000
	s_sub_i32 s40, s51, s52                                    // 000000004C68: 81A83433
	s_sub_i32 s41, s7, s30                                     // 000000004C6C: 81A91E07
	s_and_b32 s41, s41, 31                                     // 000000004C70: 86299F29
	s_add_i32 s40, s40, s41                                    // 000000004C74: 81282928
	v_add_i32 v40, v53, s40                                    // 000000004C78: D29C0028 00005135
	v_cmp_lt_i32_e64 s[72:73], v40, 0                          // 000000004C80: D0C10048 00010128
	v_cmp_lt_i32_e64 s[74:75], v40, 1                          // 000000004C88: D0C1004A 00010328
	v_cndmask_b32_e64 v84, v84, v55, s[72:73]                  // 000000004C90: D1000054 01226F54
	v_cndmask_b32_e64 v85, v85, v55, s[74:75]                  // 000000004C98: D1000055 012A6F55
	v_cmp_lt_i32_e64 s[72:73], v40, 2                          // 000000004CA0: D0C10048 00010528
	v_cmp_lt_i32_e64 s[74:75], v40, 3                          // 000000004CA8: D0C1004A 00010728
	v_cndmask_b32_e64 v86, v86, v55, s[72:73]                  // 000000004CB0: D1000056 01226F56
	v_cndmask_b32_e64 v87, v87, v55, s[74:75]                  // 000000004CB8: D1000057 012A6F57
	v_cmp_lt_i32_e64 s[72:73], v40, 8                          // 000000004CC0: D0C10048 00011128
	v_cmp_lt_i32_e64 s[74:75], v40, 9                          // 000000004CC8: D0C1004A 00011328
	v_cndmask_b32_e64 v88, v88, v55, s[72:73]                  // 000000004CD0: D1000058 01226F58
	v_cndmask_b32_e64 v89, v89, v55, s[74:75]                  // 000000004CD8: D1000059 012A6F59
	v_cmp_lt_i32_e64 s[72:73], v40, 10                         // 000000004CE0: D0C10048 00011528
	v_cmp_lt_i32_e64 s[74:75], v40, 11                         // 000000004CE8: D0C1004A 00011728
	v_cndmask_b32_e64 v90, v90, v55, s[72:73]                  // 000000004CF0: D100005A 01226F5A
	v_cndmask_b32_e64 v91, v91, v55, s[74:75]                  // 000000004CF8: D100005B 012A6F5B
	v_cmp_lt_i32_e64 s[72:73], v40, 16                         // 000000004D00: D0C10048 00012128
	v_cmp_lt_i32_e64 s[74:75], v40, 17                         // 000000004D08: D0C1004A 00012328
	v_cndmask_b32_e64 v92, v92, v55, s[72:73]                  // 000000004D10: D100005C 01226F5C
	v_cndmask_b32_e64 v93, v93, v55, s[74:75]                  // 000000004D18: D100005D 012A6F5D
	v_cmp_lt_i32_e64 s[72:73], v40, 18                         // 000000004D20: D0C10048 00012528
	v_cmp_lt_i32_e64 s[74:75], v40, 19                         // 000000004D28: D0C1004A 00012728
	v_cndmask_b32_e64 v94, v94, v55, s[72:73]                  // 000000004D30: D100005E 01226F5E
	v_cndmask_b32_e64 v95, v95, v55, s[74:75]                  // 000000004D38: D100005F 012A6F5F
	v_cmp_lt_i32_e64 s[72:73], v40, 24                         // 000000004D40: D0C10048 00013128
	v_cmp_lt_i32_e64 s[74:75], v40, 25                         // 000000004D48: D0C1004A 00013328
	v_cndmask_b32_e64 v96, v96, v55, s[72:73]                  // 000000004D50: D1000060 01226F60
	v_cndmask_b32_e64 v97, v97, v55, s[74:75]                  // 000000004D58: D1000061 012A6F61
	v_cmp_lt_i32_e64 s[72:73], v40, 26                         // 000000004D60: D0C10048 00013528
	v_cmp_lt_i32_e64 s[74:75], v40, 27                         // 000000004D68: D0C1004A 00013728
	v_cndmask_b32_e64 v98, v98, v55, s[72:73]                  // 000000004D70: D1000062 01226F62
	v_cndmask_b32_e64 v99, v99, v55, s[74:75]                  // 000000004D78: D1000063 012A6F63
	s_nop 0                                                    // 000000004D80: BF800000
	s_cmp_lt_i32 s52, s54                                      // 000000004D84: BF043634
	s_cbranch_scc1 label_06E6                                  // 000000004D88: BF850043
	s_sub_i32 s40, s7, s52                                     // 000000004D8C: 81A83407
	v_sub_i32 v40, s40, v54                                    // 000000004D90: D29D0028 00026C28
	v_cmp_lt_i32_e64 s[72:73], 0, v40                          // 000000004D98: D0C10048 00025080
	v_cmp_lt_i32_e64 s[74:75], 1, v40                          // 000000004DA0: D0C1004A 00025081
	v_cndmask_b32_e64 v84, v55, v84, s[72:73]                  // 000000004DA8: D1000054 0122A937
	v_cndmask_b32_e64 v85, v55, v85, s[74:75]                  // 000000004DB0: D1000055 012AAB37
	v_cmp_lt_i32_e64 s[72:73], 2, v40                          // 000000004DB8: D0C10048 00025082
	v_cmp_lt_i32_e64 s[74:75], 3, v40                          // 000000004DC0: D0C1004A 00025083
	v_cndmask_b32_e64 v86, v55, v86, s[72:73]                  // 000000004DC8: D1000056 0122AD37
	v_cndmask_b32_e64 v87, v55, v87, s[74:75]                  // 000000004DD0: D1000057 012AAF37
	v_cmp_lt_i32_e64 s[72:73], 8, v40                          // 000000004DD8: D0C10048 00025088
	v_cmp_lt_i32_e64 s[74:75], 9, v40                          // 000000004DE0: D0C1004A 00025089
	v_cndmask_b32_e64 v88, v55, v88, s[72:73]                  // 000000004DE8: D1000058 0122B137
	v_cndmask_b32_e64 v89, v55, v89, s[74:75]                  // 000000004DF0: D1000059 012AB337
	v_cmp_lt_i32_e64 s[72:73], 10, v40                         // 000000004DF8: D0C10048 0002508A
	v_cmp_lt_i32_e64 s[74:75], 11, v40                         // 000000004E00: D0C1004A 0002508B
	v_cndmask_b32_e64 v90, v55, v90, s[72:73]                  // 000000004E08: D100005A 0122B537
	v_cndmask_b32_e64 v91, v55, v91, s[74:75]                  // 000000004E10: D100005B 012AB737
	v_cmp_lt_i32_e64 s[72:73], 16, v40                         // 000000004E18: D0C10048 00025090
	v_cmp_lt_i32_e64 s[74:75], 17, v40                         // 000000004E20: D0C1004A 00025091
	v_cndmask_b32_e64 v92, v55, v92, s[72:73]                  // 000000004E28: D100005C 0122B937
	v_cndmask_b32_e64 v93, v55, v93, s[74:75]                  // 000000004E30: D100005D 012ABB37
	v_cmp_lt_i32_e64 s[72:73], 18, v40                         // 000000004E38: D0C10048 00025092
	v_cmp_lt_i32_e64 s[74:75], 19, v40                         // 000000004E40: D0C1004A 00025093
	v_cndmask_b32_e64 v94, v55, v94, s[72:73]                  // 000000004E48: D100005E 0122BD37
	v_cndmask_b32_e64 v95, v55, v95, s[74:75]                  // 000000004E50: D100005F 012ABF37
	v_cmp_lt_i32_e64 s[72:73], 24, v40                         // 000000004E58: D0C10048 00025098
	v_cmp_lt_i32_e64 s[74:75], 25, v40                         // 000000004E60: D0C1004A 00025099
	v_cndmask_b32_e64 v96, v55, v96, s[72:73]                  // 000000004E68: D1000060 0122C137
	v_cndmask_b32_e64 v97, v55, v97, s[74:75]                  // 000000004E70: D1000061 012AC337
	v_cmp_lt_i32_e64 s[72:73], 26, v40                         // 000000004E78: D0C10048 0002509A
	v_cmp_lt_i32_e64 s[74:75], 27, v40                         // 000000004E80: D0C1004A 0002509B
	v_cndmask_b32_e64 v98, v55, v98, s[72:73]                  // 000000004E88: D1000062 0122C537
	v_cndmask_b32_e64 v99, v55, v99, s[74:75]                  // 000000004E90: D1000063 012AC737

0000000000004e98 <label_06E6>:
	s_waitcnt vmcnt(12) lgkmcnt(12)                            // 000000004E98: BF8C0C7C
	s_barrier                                                  // 000000004E9C: BF8A0000
	v_max3_f32 v49, v84, v85, v52                              // 000000004EA0: D1D30031 04D2AB54
	v_max3_f32 v49, v86, v87, v49                              // 000000004EA8: D1D30031 04C6AF56
	v_max3_f32 v49, v88, v89, v49                              // 000000004EB0: D1D30031 04C6B358
	v_max3_f32 v49, v90, v91, v49                              // 000000004EB8: D1D30031 04C6B75A
	v_max3_f32 v49, v92, v93, v49                              // 000000004EC0: D1D30031 04C6BB5C
	v_max3_f32 v49, v94, v95, v49                              // 000000004EC8: D1D30031 04C6BF5E
	v_max3_f32 v49, v96, v97, v49                              // 000000004ED0: D1D30031 04C6C360
	v_max3_f32 v49, v98, v99, v49                              // 000000004ED8: D1D30031 04C6C762
	v_mfma_f32_32x32x8_bf16 v[100:115], a[144:145], v[68:69], v[100:115]// 000000004EE0: D3E00064 0D928990
	buffer_load_dword v172, v28, s[16:19], s35 offen           // 000000004EE8: E0501000 2304AC1C
	ds_permute_b32 v48, v56, v49                               // 000000004EF0: D87C0000 30003138
	v_mfma_f32_32x32x8_bf16 v[100:115], a[146:147], v[70:71], v[100:115]// 000000004EF8: D3E00064 0D928D92
	v_mfma_f32_32x32x8_bf16 v[100:115], a[148:149], v[72:73], v[100:115]// 000000004F00: D3E00064 0D929194
	buffer_load_dword v173, v29, s[16:19], s35 offen           // 000000004F08: E0501000 2304AD1D
	v_perm_b32 v180, v165, v164, s50                           // 000000004F10: D1ED00B4 00CB49A5
	v_perm_b32 v184, v165, v164, s49                           // 000000004F18: D1ED00B8 00C749A5
	v_perm_b32 v181, v167, v166, s50                           // 000000004F20: D1ED00B5 00CB4DA7
	v_perm_b32 v185, v167, v166, s49                           // 000000004F28: D1ED00B9 00C74DA7
	v_perm_b32 v182, v169, v168, s50                           // 000000004F30: D1ED00B6 00CB51A9
	v_perm_b32 v186, v169, v168, s49                           // 000000004F38: D1ED00BA 00C751A9
	v_perm_b32 v183, v171, v170, s50                           // 000000004F40: D1ED00B7 00CB55AB
	v_perm_b32 v187, v171, v170, s49                           // 000000004F48: D1ED00BB 00C755AB
	v_mfma_f32_32x32x8_bf16 v[100:115], a[150:151], v[74:75], v[100:115]// 000000004F50: D3E00064 0D929596
	v_mfma_f32_32x32x8_bf16 v[116:131], a[152:153], v[68:69], v[116:131]// 000000004F58: D3E00074 0DD28998
	buffer_load_dword v174, v30, s[16:19], s35 offen           // 000000004F60: E0501000 2304AE1E
	v_mfma_f32_32x32x8_bf16 v[116:131], a[154:155], v[70:71], v[116:131]// 000000004F68: D3E00074 0DD28D9A
	s_waitcnt lgkmcnt(0)                                       // 000000004F70: BF8CC07F
	s_nop 0                                                    // 000000004F74: BF800000
	v_mfma_f32_32x32x8_bf16 v[116:131], a[156:157], v[72:73], v[116:131]// 000000004F78: D3E00074 0DD2919C
	buffer_load_dword v175, v31, s[16:19], s35 offen           // 000000004F80: E0501000 2304AF1F
	ds_read_b128 a[176:179], v37 offset:34432                  // 000000004F88: DBFE8680 B0000025
	ds_read_b128 a[180:183], v37 offset:36480                  // 000000004F90: DBFE8E80 B4000025
	ds_read_b128 a[184:187], v37 offset:34688                  // 000000004F98: DBFE8780 B8000025
	ds_read_b128 a[188:191], v37 offset:36736                  // 000000004FA0: DBFE8F80 BC000025
	v_mfma_f32_32x32x8_bf16 v[116:131], a[158:159], v[74:75], v[116:131]// 000000004FA8: D3E00074 0DD2959E
	v_mfma_f32_32x32x8_bf16 v[132:147], a[160:161], v[68:69], v[132:147]// 000000004FB0: D3E00084 0E1289A0
	buffer_load_dword v176, v32, s[16:19], s35 offen           // 000000004FB8: E0501000 2304B020
	v_mfma_f32_32x32x8_bf16 v[132:147], a[162:163], v[70:71], v[132:147]// 000000004FC0: D3E00084 0E128DA2
	v_mfma_f32_32x32x8_bf16 v[132:147], a[164:165], v[72:73], v[132:147]// 000000004FC8: D3E00084 0E1291A4
	buffer_load_dword v177, v33, s[16:19], s35 offen           // 000000004FD0: E0501000 2304B121
	ds_read_b128 a[192:195], v37 offset:34944                  // 000000004FD8: DBFE8880 C0000025
	ds_read_b128 a[196:199], v37 offset:36992                  // 000000004FE0: DBFE9080 C4000025
	ds_read_b128 a[200:203], v37 offset:35200                  // 000000004FE8: DBFE8980 C8000025
	ds_read_b128 a[204:207], v37 offset:37248                  // 000000004FF0: DBFE9180 CC000025
	v_mfma_f32_32x32x8_bf16 v[132:147], a[166:167], v[74:75], v[132:147]// 000000004FF8: D3E00084 0E1295A6
	v_mfma_f32_32x32x8_bf16 v[148:163], a[168:169], v[68:69], v[148:163]// 000000005000: D3E00094 0E5289A8
	buffer_load_dword v178, v34, s[16:19], s35 offen           // 000000005008: E0501000 2304B222
	v_mfma_f32_32x32x8_bf16 v[148:163], a[170:171], v[70:71], v[148:163]// 000000005010: D3E00094 0E528DAA
	v_mfma_f32_32x32x8_bf16 v[148:163], a[172:173], v[72:73], v[148:163]// 000000005018: D3E00094 0E5291AC
	buffer_load_dword v179, v35, s[16:19], s35 offen           // 000000005020: E0501000 2304B323
	v_max_f32_e32 v49, v48, v49                                // 000000005028: 16626330
	v_sub_f32_e32 v44, v52, v49                                // 00000000502C: 04586334
	v_mov_b32_e32 v52, v49                                     // 000000005030: 7E680331
	v_mul_f32_e32 v51, s56, v49                                // 000000005034: 0A666238
	v_mul_f32_e32 v44, s56, v44                                // 000000005038: 0A585838
	v_exp_f32_e32 v44, v44                                     // 00000000503C: 7E58412C
	v_add_f32_e64 v60, 0, -v51                                 // 000000005040: D101003C 40026680
	v_mov_b32_e32 v61, v60                                     // 000000005048: 7E7A033C
	s_nop 0                                                    // 00000000504C: BF800000
	v_pk_fma_f32 v[84:85], v[84:85], s[56:57], v[60:61]        // 000000005050: D3B04054 1CF07154
	v_pk_fma_f32 v[86:87], v[86:87], s[56:57], v[60:61]        // 000000005058: D3B04056 1CF07156
	v_pk_fma_f32 v[88:89], v[88:89], s[56:57], v[60:61]        // 000000005060: D3B04058 1CF07158
	v_pk_fma_f32 v[90:91], v[90:91], s[56:57], v[60:61]        // 000000005068: D3B0405A 1CF0715A
	v_pk_fma_f32 v[92:93], v[92:93], s[56:57], v[60:61]        // 000000005070: D3B0405C 1CF0715C
	v_pk_fma_f32 v[94:95], v[94:95], s[56:57], v[60:61]        // 000000005078: D3B0405E 1CF0715E
	v_pk_fma_f32 v[96:97], v[96:97], s[56:57], v[60:61]        // 000000005080: D3B04060 1CF07160
	v_pk_fma_f32 v[98:99], v[98:99], s[56:57], v[60:61]        // 000000005088: D3B04062 1CF07162
	v_mfma_f32_32x32x8_bf16 v[148:163], a[174:175], v[74:75], v[148:163]// 000000005090: D3E00094 0E5295AE
	s_add_i32 s35, s44, s35                                    // 000000005098: 8123232C
	s_add_i32 s52, s52, s53                                    // 00000000509C: 81343534
	s_addk_i32 s39, 0x20                                       // 0000000050A0: B7270020
	s_cmp_lt_i32 s39, s38                                      // 0000000050A4: BF042627
	s_nop 0                                                    // 0000000050A8: BF800000
	v_mov_b32_e32 v45, v44                                     // 0000000050AC: 7E5A032C
	v_mul_f32_e32 v100, v44, v100                              // 0000000050B0: 0AC8C92C
	v_mul_f32_e32 v101, v44, v101                              // 0000000050B4: 0ACACB2C
	v_pk_mul_f32 v[102:103], v[44:45], v[102:103]              // 0000000050B8: D3B14066 1802CD2C
	v_pk_mul_f32 v[104:105], v[44:45], v[104:105]              // 0000000050C0: D3B14068 1802D12C
	v_pk_mul_f32 v[106:107], v[44:45], v[106:107]              // 0000000050C8: D3B1406A 1802D52C
	v_pk_mul_f32 v[108:109], v[44:45], v[108:109]              // 0000000050D0: D3B1406C 1802D92C
	v_pk_mul_f32 v[110:111], v[44:45], v[110:111]              // 0000000050D8: D3B1406E 1802DD2C
	v_pk_mul_f32 v[112:113], v[44:45], v[112:113]              // 0000000050E0: D3B14070 1802E12C
	v_pk_mul_f32 v[114:115], v[44:45], v[114:115]              // 0000000050E8: D3B14072 1802E52C
	v_pk_mul_f32 v[116:117], v[44:45], v[116:117]              // 0000000050F0: D3B14074 1802E92C
	v_pk_mul_f32 v[118:119], v[44:45], v[118:119]              // 0000000050F8: D3B14076 1802ED2C
	v_pk_mul_f32 v[120:121], v[44:45], v[120:121]              // 000000005100: D3B14078 1802F12C
	v_pk_mul_f32 v[122:123], v[44:45], v[122:123]              // 000000005108: D3B1407A 1802F52C
	v_pk_mul_f32 v[124:125], v[44:45], v[124:125]              // 000000005110: D3B1407C 1802F92C
	v_pk_mul_f32 v[126:127], v[44:45], v[126:127]              // 000000005118: D3B1407E 1802FD2C
	v_pk_mul_f32 v[128:129], v[44:45], v[128:129]              // 000000005120: D3B14080 1803012C
	v_pk_mul_f32 v[130:131], v[44:45], v[130:131]              // 000000005128: D3B14082 1803052C
	v_pk_mul_f32 v[132:133], v[44:45], v[132:133]              // 000000005130: D3B14084 1803092C
	v_pk_mul_f32 v[134:135], v[44:45], v[134:135]              // 000000005138: D3B14086 18030D2C
	v_pk_mul_f32 v[136:137], v[44:45], v[136:137]              // 000000005140: D3B14088 1803112C
	v_pk_mul_f32 v[138:139], v[44:45], v[138:139]              // 000000005148: D3B1408A 1803152C
	v_pk_mul_f32 v[140:141], v[44:45], v[140:141]              // 000000005150: D3B1408C 1803192C
	v_pk_mul_f32 v[142:143], v[44:45], v[142:143]              // 000000005158: D3B1408E 18031D2C
	v_pk_mul_f32 v[144:145], v[44:45], v[144:145]              // 000000005160: D3B14090 1803212C
	v_pk_mul_f32 v[146:147], v[44:45], v[146:147]              // 000000005168: D3B14092 1803252C
	v_pk_mul_f32 v[148:149], v[44:45], v[148:149]              // 000000005170: D3B14094 1803292C
	v_pk_mul_f32 v[150:151], v[44:45], v[150:151]              // 000000005178: D3B14096 18032D2C
	v_pk_mul_f32 v[152:153], v[44:45], v[152:153]              // 000000005180: D3B14098 1803312C
	v_pk_mul_f32 v[154:155], v[44:45], v[154:155]              // 000000005188: D3B1409A 1803352C
	v_pk_mul_f32 v[156:157], v[44:45], v[156:157]              // 000000005190: D3B1409C 1803392C
	v_pk_mul_f32 v[158:159], v[44:45], v[158:159]              // 000000005198: D3B1409E 18033D2C
	v_pk_mul_f32 v[160:161], v[44:45], v[160:161]              // 0000000051A0: D3B140A0 1803412C
	v_pk_mul_f32 v[162:163], v[44:45], v[162:163]              // 0000000051A8: D3B140A2 1803452C
	s_cbranch_scc0 label_0F5A                                  // 0000000051B0: BF8407AD
	s_waitcnt vmcnt(8) lgkmcnt(8)                              // 0000000051B4: BF8C0878
	s_barrier                                                  // 0000000051B8: BF8A0000
	v_mfma_f32_32x32x8_bf16 v[68:83], a[48:49], a[0:1], 0      // 0000000051BC: D3E00044 1A020130
	s_mov_b32 m0, s68                                          // 0000000051C4: BEFC0044
	buffer_load_dword v16, s[12:15], s60 offen lds             // 0000000051C8: E0511000 3C030010
	ds_write_b128 v38, v[180:183] offset:26112                 // 0000000051D0: D9BE6600 0000B426
	v_mfma_f32_32x32x8_bf16 v[68:83], a[50:51], a[2:3], v[68:83]// 0000000051D8: D3E00044 1D120532
	v_mfma_f32_32x32x8_bf16 v[68:83], a[52:53], a[4:5], v[68:83]// 0000000051E0: D3E00044 1D120934
	s_add_u32 m0, 0x440, m0                                    // 0000000051E8: 807C7CFF 00000440
	buffer_load_dword v17, s[12:15], s60 offen lds             // 0000000051F0: E0511000 3C030011
	ds_write_b128 v38, v[184:187] offset:30272                 // 0000000051F8: D9BE7640 0000B826
	v_mfma_f32_32x32x8_bf16 v[68:83], a[54:55], a[6:7], v[68:83]// 000000005200: D3E00044 1D120D36
	v_mfma_f32_32x32x8_bf16 v[68:83], a[56:57], a[8:9], v[68:83]// 000000005208: D3E00044 1D121138
	s_add_u32 m0, 0x440, m0                                    // 000000005210: 807C7CFF 00000440
	buffer_load_dword v18, s[12:15], s60 offen lds             // 000000005218: E0511000 3C030012
	ds_read_b128 a[96:99], v36 offset:13056                    // 000000005220: DBFE3300 60000024
	ds_read_b128 a[100:103], v36 offset:13088                  // 000000005228: DBFE3320 64000024
	v_mfma_f32_32x32x8_bf16 v[68:83], a[58:59], a[10:11], v[68:83]// 000000005230: D3E00044 1D12153A
	v_mfma_f32_32x32x8_bf16 v[68:83], a[60:61], a[12:13], v[68:83]// 000000005238: D3E00044 1D12193C
	s_add_u32 m0, 0x440, m0                                    // 000000005240: 807C7CFF 00000440
	buffer_load_dword v19, s[12:15], s60 offen lds             // 000000005248: E0511000 3C030013
	ds_read_b128 a[104:107], v36 offset:13120                  // 000000005250: DBFE3340 68000024
	ds_read_b128 a[108:111], v36 offset:13152                  // 000000005258: DBFE3360 6C000024
	v_mfma_f32_32x32x8_bf16 v[68:83], a[62:63], a[14:15], v[68:83]// 000000005260: D3E00044 1D121D3E
	v_mfma_f32_32x32x8_bf16 v[68:83], a[64:65], a[16:17], v[68:83]// 000000005268: D3E00044 1D122140
	s_add_u32 m0, 0x440, m0                                    // 000000005270: 807C7CFF 00000440
	buffer_load_dword v20, s[12:15], s60 offen lds             // 000000005278: E0511000 3C030014
	ds_read_b128 a[112:115], v36 offset:17408                  // 000000005280: DBFE4400 70000024
	ds_read_b128 a[116:119], v36 offset:17440                  // 000000005288: DBFE4420 74000024
	v_mfma_f32_32x32x8_bf16 v[68:83], a[66:67], a[18:19], v[68:83]// 000000005290: D3E00044 1D122542
	v_mfma_f32_32x32x8_bf16 v[68:83], a[68:69], a[20:21], v[68:83]// 000000005298: D3E00044 1D122944
	s_add_u32 m0, 0x440, m0                                    // 0000000052A0: 807C7CFF 00000440
	buffer_load_dword v21, s[12:15], s60 offen lds             // 0000000052A8: E0511000 3C030015
	ds_read_b128 a[120:123], v36 offset:17472                  // 0000000052B0: DBFE4440 78000024
	ds_read_b128 a[124:127], v36 offset:17504                  // 0000000052B8: DBFE4460 7C000024
	v_mfma_f32_32x32x8_bf16 v[68:83], a[70:71], a[22:23], v[68:83]// 0000000052C0: D3E00044 1D122D46
	v_mfma_f32_32x32x8_bf16 v[68:83], a[72:73], a[24:25], v[68:83]// 0000000052C8: D3E00044 1D123148
	s_add_u32 m0, 0x440, m0                                    // 0000000052D0: 807C7CFF 00000440
	buffer_load_dword v22, s[12:15], s60 offen lds             // 0000000052D8: E0511000 3C030016
	ds_read_b128 a[128:131], v36 offset:21760                  // 0000000052E0: DBFE5500 80000024
	ds_read_b128 a[132:135], v36 offset:21792                  // 0000000052E8: DBFE5520 84000024
	v_mfma_f32_32x32x8_bf16 v[68:83], a[74:75], a[26:27], v[68:83]// 0000000052F0: D3E00044 1D12354A
	v_mfma_f32_32x32x8_bf16 v[68:83], a[76:77], a[28:29], v[68:83]// 0000000052F8: D3E00044 1D12394C
	s_add_u32 m0, 0x440, m0                                    // 000000005300: 807C7CFF 00000440
	buffer_load_dword v23, s[12:15], s60 offen lds             // 000000005308: E0511000 3C030017
	ds_read_b128 a[136:139], v36 offset:21824                  // 000000005310: DBFE5540 88000024
	ds_read_b128 a[140:143], v36 offset:21856                  // 000000005318: DBFE5560 8C000024
	v_mfma_f32_32x32x8_bf16 v[68:83], a[78:79], a[30:31], v[68:83]// 000000005320: D3E00044 1D123D4E
	v_mfma_f32_32x32x8_bf16 v[68:83], a[80:81], a[32:33], v[68:83]// 000000005328: D3E00044 1D124150
	s_add_u32 m0, 0x440, m0                                    // 000000005330: 807C7CFF 00000440
	buffer_load_dword v24, s[12:15], s60 offen lds             // 000000005338: E0511000 3C030018
	v_mfma_f32_32x32x8_bf16 v[68:83], a[82:83], a[34:35], v[68:83]// 000000005340: D3E00044 1D124552
	v_mfma_f32_32x32x8_bf16 v[68:83], a[84:85], a[36:37], v[68:83]// 000000005348: D3E00044 1D124954
	s_add_u32 m0, 0x440, m0                                    // 000000005350: 807C7CFF 00000440
	buffer_load_dword v25, s[12:15], s60 offen lds             // 000000005358: E0511000 3C030019
	v_mfma_f32_32x32x8_bf16 v[68:83], a[86:87], a[38:39], v[68:83]// 000000005360: D3E00044 1D124D56
	v_mfma_f32_32x32x8_bf16 v[68:83], a[88:89], a[40:41], v[68:83]// 000000005368: D3E00044 1D125158
	s_add_u32 m0, 0x440, m0                                    // 000000005370: 807C7CFF 00000440
	buffer_load_dword v26, s[12:15], s60 offen lds             // 000000005378: E0511000 3C03001A
	v_mfma_f32_32x32x8_bf16 v[68:83], a[90:91], a[42:43], v[68:83]// 000000005380: D3E00044 1D12555A
	v_mfma_f32_32x32x8_bf16 v[68:83], a[92:93], a[44:45], v[68:83]// 000000005388: D3E00044 1D12595C
	s_add_u32 m0, 0x440, m0                                    // 000000005390: 807C7CFF 00000440
	buffer_load_dword v27, s[12:15], s60 offen lds             // 000000005398: E0511000 3C03001B
	s_nop 0                                                    // 0000000053A0: BF800000
	v_exp_f32_e32 v84, v84                                     // 0000000053A4: 7EA84154
	v_exp_f32_e32 v85, v85                                     // 0000000053A8: 7EAA4155
	v_exp_f32_e32 v86, v86                                     // 0000000053AC: 7EAC4156
	v_exp_f32_e32 v87, v87                                     // 0000000053B0: 7EAE4157
	v_exp_f32_e32 v88, v88                                     // 0000000053B4: 7EB04158
	v_exp_f32_e32 v89, v89                                     // 0000000053B8: 7EB24159
	v_exp_f32_e32 v90, v90                                     // 0000000053BC: 7EB4415A
	v_exp_f32_e32 v91, v91                                     // 0000000053C0: 7EB6415B
	v_exp_f32_e32 v92, v92                                     // 0000000053C4: 7EB8415C
	v_exp_f32_e32 v93, v93                                     // 0000000053C8: 7EBA415D
	v_exp_f32_e32 v94, v94                                     // 0000000053CC: 7EBC415E
	v_exp_f32_e32 v95, v95                                     // 0000000053D0: 7EBE415F
	v_exp_f32_e32 v96, v96                                     // 0000000053D4: 7EC04160
	v_exp_f32_e32 v97, v97                                     // 0000000053D8: 7EC24161
	v_exp_f32_e32 v98, v98                                     // 0000000053DC: 7EC44162
	v_exp_f32_e32 v99, v99                                     // 0000000053E0: 7EC64163
	v_mul_f32_e32 v46, v44, v46                                // 0000000053E4: 0A5C5D2C
	v_pk_add_f32 v[62:63], v[84:85], v[86:87]                  // 0000000053E8: D3B2403E 1802AD54
	v_pk_add_f32 v[62:63], v[88:89], v[62:63]                  // 0000000053F0: D3B2403E 18027D58
	v_pk_add_f32 v[62:63], v[90:91], v[62:63]                  // 0000000053F8: D3B2403E 18027D5A
	v_pk_add_f32 v[62:63], v[92:93], v[62:63]                  // 000000005400: D3B2403E 18027D5C
	v_pk_add_f32 v[62:63], v[94:95], v[62:63]                  // 000000005408: D3B2403E 18027D5E
	v_pk_add_f32 v[62:63], v[96:97], v[62:63]                  // 000000005410: D3B2403E 18027D60
	v_pk_add_f32 v[62:63], v[98:99], v[62:63]                  // 000000005418: D3B2403E 18027D62
	v_add_f32_e32 v62, v62, v63                                // 000000005420: 027C7F3E
	v_add_f32_e32 v46, v62, v46                                // 000000005424: 025C5D3E
	v_cmp_u_f32_e64 s[70:71], v84, v84                         // 000000005428: D0480046 0002A954
	v_bfe_u32 v64, v84, 16, 1                                  // 000000005430: D1C80040 02052154
	v_add3_u32 v64, v84, v64, v67                              // 000000005438: D1FF0040 050E8154
	v_cndmask_b32_e64 v40, v64, v66, s[70:71]                  // 000000005440: D1000028 011A8540
	v_lshrrev_b32_e32 v40, 16, v40                             // 000000005448: 20505090
	v_cmp_u_f32_e64 s[70:71], v85, v85                         // 00000000544C: D0480046 0002AB55
	v_bfe_u32 v64, v85, 16, 1                                  // 000000005454: D1C80040 02052155
	v_add3_u32 v64, v85, v64, v67                              // 00000000545C: D1FF0040 050E8155
	v_cndmask_b32_e64 v41, v64, v66, s[70:71]                  // 000000005464: D1000029 011A8540
	v_and_or_b32 v84, v41, v65, v40                            // 00000000546C: D2010054 04A28329
	v_cmp_u_f32_e64 s[70:71], v86, v86                         // 000000005474: D0480046 0002AD56
	v_bfe_u32 v64, v86, 16, 1                                  // 00000000547C: D1C80040 02052156
	v_add3_u32 v64, v86, v64, v67                              // 000000005484: D1FF0040 050E8156
	v_cndmask_b32_e64 v40, v64, v66, s[70:71]                  // 00000000548C: D1000028 011A8540
	v_lshrrev_b32_e32 v40, 16, v40                             // 000000005494: 20505090
	v_cmp_u_f32_e64 s[70:71], v87, v87                         // 000000005498: D0480046 0002AF57
	v_bfe_u32 v64, v87, 16, 1                                  // 0000000054A0: D1C80040 02052157
	v_add3_u32 v64, v87, v64, v67                              // 0000000054A8: D1FF0040 050E8157
	v_cndmask_b32_e64 v41, v64, v66, s[70:71]                  // 0000000054B0: D1000029 011A8540
	v_and_or_b32 v85, v41, v65, v40                            // 0000000054B8: D2010055 04A28329
	v_cmp_u_f32_e64 s[70:71], v88, v88                         // 0000000054C0: D0480046 0002B158
	v_bfe_u32 v64, v88, 16, 1                                  // 0000000054C8: D1C80040 02052158
	v_add3_u32 v64, v88, v64, v67                              // 0000000054D0: D1FF0040 050E8158
	v_cndmask_b32_e64 v40, v64, v66, s[70:71]                  // 0000000054D8: D1000028 011A8540
	v_lshrrev_b32_e32 v40, 16, v40                             // 0000000054E0: 20505090
	v_cmp_u_f32_e64 s[70:71], v89, v89                         // 0000000054E4: D0480046 0002B359
	v_bfe_u32 v64, v89, 16, 1                                  // 0000000054EC: D1C80040 02052159
	v_add3_u32 v64, v89, v64, v67                              // 0000000054F4: D1FF0040 050E8159
	v_cndmask_b32_e64 v41, v64, v66, s[70:71]                  // 0000000054FC: D1000029 011A8540
	v_and_or_b32 v86, v41, v65, v40                            // 000000005504: D2010056 04A28329
	v_cmp_u_f32_e64 s[70:71], v90, v90                         // 00000000550C: D0480046 0002B55A
	v_bfe_u32 v64, v90, 16, 1                                  // 000000005514: D1C80040 0205215A
	v_add3_u32 v64, v90, v64, v67                              // 00000000551C: D1FF0040 050E815A
	v_cndmask_b32_e64 v40, v64, v66, s[70:71]                  // 000000005524: D1000028 011A8540
	v_lshrrev_b32_e32 v40, 16, v40                             // 00000000552C: 20505090
	v_cmp_u_f32_e64 s[70:71], v91, v91                         // 000000005530: D0480046 0002B75B
	v_bfe_u32 v64, v91, 16, 1                                  // 000000005538: D1C80040 0205215B
	v_add3_u32 v64, v91, v64, v67                              // 000000005540: D1FF0040 050E815B
	v_cndmask_b32_e64 v41, v64, v66, s[70:71]                  // 000000005548: D1000029 011A8540
	v_and_or_b32 v87, v41, v65, v40                            // 000000005550: D2010057 04A28329
	v_cmp_u_f32_e64 s[70:71], v92, v92                         // 000000005558: D0480046 0002B95C
	v_bfe_u32 v64, v92, 16, 1                                  // 000000005560: D1C80040 0205215C
	v_add3_u32 v64, v92, v64, v67                              // 000000005568: D1FF0040 050E815C
	v_cndmask_b32_e64 v40, v64, v66, s[70:71]                  // 000000005570: D1000028 011A8540
	v_lshrrev_b32_e32 v40, 16, v40                             // 000000005578: 20505090
	v_cmp_u_f32_e64 s[70:71], v93, v93                         // 00000000557C: D0480046 0002BB5D
	v_bfe_u32 v64, v93, 16, 1                                  // 000000005584: D1C80040 0205215D
	v_add3_u32 v64, v93, v64, v67                              // 00000000558C: D1FF0040 050E815D
	v_cndmask_b32_e64 v41, v64, v66, s[70:71]                  // 000000005594: D1000029 011A8540
	v_and_or_b32 v88, v41, v65, v40                            // 00000000559C: D2010058 04A28329
	v_cmp_u_f32_e64 s[70:71], v94, v94                         // 0000000055A4: D0480046 0002BD5E
	v_bfe_u32 v64, v94, 16, 1                                  // 0000000055AC: D1C80040 0205215E
	v_add3_u32 v64, v94, v64, v67                              // 0000000055B4: D1FF0040 050E815E
	v_cndmask_b32_e64 v40, v64, v66, s[70:71]                  // 0000000055BC: D1000028 011A8540
	v_lshrrev_b32_e32 v40, 16, v40                             // 0000000055C4: 20505090
	v_cmp_u_f32_e64 s[70:71], v95, v95                         // 0000000055C8: D0480046 0002BF5F
	v_bfe_u32 v64, v95, 16, 1                                  // 0000000055D0: D1C80040 0205215F
	v_add3_u32 v64, v95, v64, v67                              // 0000000055D8: D1FF0040 050E815F
	v_cndmask_b32_e64 v41, v64, v66, s[70:71]                  // 0000000055E0: D1000029 011A8540
	v_and_or_b32 v89, v41, v65, v40                            // 0000000055E8: D2010059 04A28329
	v_cmp_u_f32_e64 s[70:71], v96, v96                         // 0000000055F0: D0480046 0002C160
	v_bfe_u32 v64, v96, 16, 1                                  // 0000000055F8: D1C80040 02052160
	v_add3_u32 v64, v96, v64, v67                              // 000000005600: D1FF0040 050E8160
	v_cndmask_b32_e64 v40, v64, v66, s[70:71]                  // 000000005608: D1000028 011A8540
	v_lshrrev_b32_e32 v40, 16, v40                             // 000000005610: 20505090
	v_cmp_u_f32_e64 s[70:71], v97, v97                         // 000000005614: D0480046 0002C361
	v_bfe_u32 v64, v97, 16, 1                                  // 00000000561C: D1C80040 02052161
	v_add3_u32 v64, v97, v64, v67                              // 000000005624: D1FF0040 050E8161
	v_cndmask_b32_e64 v41, v64, v66, s[70:71]                  // 00000000562C: D1000029 011A8540
	v_and_or_b32 v90, v41, v65, v40                            // 000000005634: D201005A 04A28329
	v_cmp_u_f32_e64 s[70:71], v98, v98                         // 00000000563C: D0480046 0002C562
	v_bfe_u32 v64, v98, 16, 1                                  // 000000005644: D1C80040 02052162
	v_add3_u32 v64, v98, v64, v67                              // 00000000564C: D1FF0040 050E8162
	v_cndmask_b32_e64 v40, v64, v66, s[70:71]                  // 000000005654: D1000028 011A8540
	v_lshrrev_b32_e32 v40, 16, v40                             // 00000000565C: 20505090
	v_cmp_u_f32_e64 s[70:71], v99, v99                         // 000000005660: D0480046 0002C763
	v_bfe_u32 v64, v99, 16, 1                                  // 000000005668: D1C80040 02052163
	v_add3_u32 v64, v99, v64, v67                              // 000000005670: D1FF0040 050E8163
	v_cndmask_b32_e64 v41, v64, v66, s[70:71]                  // 000000005678: D1000029 011A8540
	v_and_or_b32 v91, v41, v65, v40                            // 000000005680: D201005B 04A28329
	v_mfma_f32_32x32x8_bf16 v[68:83], a[94:95], a[46:47], v[68:83]// 000000005688: D3E00044 1D125D5E
	s_add_i32 s60, s43, s60                                    // 000000005690: 813C3C2B
	s_cmp_lt_i32 s52, s51                                      // 000000005694: BF043334
	s_cbranch_scc1 label_0974                                  // 000000005698: BF85008D
	s_nop 0                                                    // 00000000569C: BF800000
	s_sub_i32 s40, s51, s52                                    // 0000000056A0: 81A83433
	s_sub_i32 s41, s7, s30                                     // 0000000056A4: 81A91E07
	s_and_b32 s41, s41, 31                                     // 0000000056A8: 86299F29
	s_add_i32 s40, s40, s41                                    // 0000000056AC: 81282928
	v_add_i32 v40, v53, s40                                    // 0000000056B0: D29C0028 00005135
	v_cmp_lt_i32_e64 s[72:73], v40, 0                          // 0000000056B8: D0C10048 00010128
	v_cmp_lt_i32_e64 s[74:75], v40, 1                          // 0000000056C0: D0C1004A 00010328
	v_cndmask_b32_e64 v68, v68, v55, s[72:73]                  // 0000000056C8: D1000044 01226F44
	v_cndmask_b32_e64 v69, v69, v55, s[74:75]                  // 0000000056D0: D1000045 012A6F45
	v_cmp_lt_i32_e64 s[72:73], v40, 2                          // 0000000056D8: D0C10048 00010528
	v_cmp_lt_i32_e64 s[74:75], v40, 3                          // 0000000056E0: D0C1004A 00010728
	v_cndmask_b32_e64 v70, v70, v55, s[72:73]                  // 0000000056E8: D1000046 01226F46
	v_cndmask_b32_e64 v71, v71, v55, s[74:75]                  // 0000000056F0: D1000047 012A6F47
	v_cmp_lt_i32_e64 s[72:73], v40, 8                          // 0000000056F8: D0C10048 00011128
	v_cmp_lt_i32_e64 s[74:75], v40, 9                          // 000000005700: D0C1004A 00011328
	v_cndmask_b32_e64 v72, v72, v55, s[72:73]                  // 000000005708: D1000048 01226F48
	v_cndmask_b32_e64 v73, v73, v55, s[74:75]                  // 000000005710: D1000049 012A6F49
	v_cmp_lt_i32_e64 s[72:73], v40, 10                         // 000000005718: D0C10048 00011528
	v_cmp_lt_i32_e64 s[74:75], v40, 11                         // 000000005720: D0C1004A 00011728
	v_cndmask_b32_e64 v74, v74, v55, s[72:73]                  // 000000005728: D100004A 01226F4A
	v_cndmask_b32_e64 v75, v75, v55, s[74:75]                  // 000000005730: D100004B 012A6F4B
	v_cmp_lt_i32_e64 s[72:73], v40, 16                         // 000000005738: D0C10048 00012128
	v_cmp_lt_i32_e64 s[74:75], v40, 17                         // 000000005740: D0C1004A 00012328
	v_cndmask_b32_e64 v76, v76, v55, s[72:73]                  // 000000005748: D100004C 01226F4C
	v_cndmask_b32_e64 v77, v77, v55, s[74:75]                  // 000000005750: D100004D 012A6F4D
	v_cmp_lt_i32_e64 s[72:73], v40, 18                         // 000000005758: D0C10048 00012528
	v_cmp_lt_i32_e64 s[74:75], v40, 19                         // 000000005760: D0C1004A 00012728
	v_cndmask_b32_e64 v78, v78, v55, s[72:73]                  // 000000005768: D100004E 01226F4E
	v_cndmask_b32_e64 v79, v79, v55, s[74:75]                  // 000000005770: D100004F 012A6F4F
	v_cmp_lt_i32_e64 s[72:73], v40, 24                         // 000000005778: D0C10048 00013128
	v_cmp_lt_i32_e64 s[74:75], v40, 25                         // 000000005780: D0C1004A 00013328
	v_cndmask_b32_e64 v80, v80, v55, s[72:73]                  // 000000005788: D1000050 01226F50
	v_cndmask_b32_e64 v81, v81, v55, s[74:75]                  // 000000005790: D1000051 012A6F51
	v_cmp_lt_i32_e64 s[72:73], v40, 26                         // 000000005798: D0C10048 00013528
	v_cmp_lt_i32_e64 s[74:75], v40, 27                         // 0000000057A0: D0C1004A 00013728
	v_cndmask_b32_e64 v82, v82, v55, s[72:73]                  // 0000000057A8: D1000052 01226F52
	v_cndmask_b32_e64 v83, v83, v55, s[74:75]                  // 0000000057B0: D1000053 012A6F53
	s_nop 0                                                    // 0000000057B8: BF800000
	s_cmp_lt_i32 s52, s54                                      // 0000000057BC: BF043634
	s_cbranch_scc1 label_0974                                  // 0000000057C0: BF850043
	s_sub_i32 s40, s7, s52                                     // 0000000057C4: 81A83407
	v_sub_i32 v40, s40, v54                                    // 0000000057C8: D29D0028 00026C28
	v_cmp_lt_i32_e64 s[72:73], 0, v40                          // 0000000057D0: D0C10048 00025080
	v_cmp_lt_i32_e64 s[74:75], 1, v40                          // 0000000057D8: D0C1004A 00025081
	v_cndmask_b32_e64 v68, v55, v68, s[72:73]                  // 0000000057E0: D1000044 01228937
	v_cndmask_b32_e64 v69, v55, v69, s[74:75]                  // 0000000057E8: D1000045 012A8B37
	v_cmp_lt_i32_e64 s[72:73], 2, v40                          // 0000000057F0: D0C10048 00025082
	v_cmp_lt_i32_e64 s[74:75], 3, v40                          // 0000000057F8: D0C1004A 00025083
	v_cndmask_b32_e64 v70, v55, v70, s[72:73]                  // 000000005800: D1000046 01228D37
	v_cndmask_b32_e64 v71, v55, v71, s[74:75]                  // 000000005808: D1000047 012A8F37
	v_cmp_lt_i32_e64 s[72:73], 8, v40                          // 000000005810: D0C10048 00025088
	v_cmp_lt_i32_e64 s[74:75], 9, v40                          // 000000005818: D0C1004A 00025089
	v_cndmask_b32_e64 v72, v55, v72, s[72:73]                  // 000000005820: D1000048 01229137
	v_cndmask_b32_e64 v73, v55, v73, s[74:75]                  // 000000005828: D1000049 012A9337
	v_cmp_lt_i32_e64 s[72:73], 10, v40                         // 000000005830: D0C10048 0002508A
	v_cmp_lt_i32_e64 s[74:75], 11, v40                         // 000000005838: D0C1004A 0002508B
	v_cndmask_b32_e64 v74, v55, v74, s[72:73]                  // 000000005840: D100004A 01229537
	v_cndmask_b32_e64 v75, v55, v75, s[74:75]                  // 000000005848: D100004B 012A9737
	v_cmp_lt_i32_e64 s[72:73], 16, v40                         // 000000005850: D0C10048 00025090
	v_cmp_lt_i32_e64 s[74:75], 17, v40                         // 000000005858: D0C1004A 00025091
	v_cndmask_b32_e64 v76, v55, v76, s[72:73]                  // 000000005860: D100004C 01229937
	v_cndmask_b32_e64 v77, v55, v77, s[74:75]                  // 000000005868: D100004D 012A9B37
	v_cmp_lt_i32_e64 s[72:73], 18, v40                         // 000000005870: D0C10048 00025092
	v_cmp_lt_i32_e64 s[74:75], 19, v40                         // 000000005878: D0C1004A 00025093
	v_cndmask_b32_e64 v78, v55, v78, s[72:73]                  // 000000005880: D100004E 01229D37
	v_cndmask_b32_e64 v79, v55, v79, s[74:75]                  // 000000005888: D100004F 012A9F37
	v_cmp_lt_i32_e64 s[72:73], 24, v40                         // 000000005890: D0C10048 00025098
	v_cmp_lt_i32_e64 s[74:75], 25, v40                         // 000000005898: D0C1004A 00025099
	v_cndmask_b32_e64 v80, v55, v80, s[72:73]                  // 0000000058A0: D1000050 0122A137
	v_cndmask_b32_e64 v81, v55, v81, s[74:75]                  // 0000000058A8: D1000051 012AA337
	v_cmp_lt_i32_e64 s[72:73], 26, v40                         // 0000000058B0: D0C10048 0002509A
	v_cmp_lt_i32_e64 s[74:75], 27, v40                         // 0000000058B8: D0C1004A 0002509B
	v_cndmask_b32_e64 v82, v55, v82, s[72:73]                  // 0000000058C0: D1000052 0122A537
	v_cndmask_b32_e64 v83, v55, v83, s[74:75]                  // 0000000058C8: D1000053 012AA737

00000000000058d0 <label_0974>:
	s_waitcnt vmcnt(12) lgkmcnt(12)                            // 0000000058D0: BF8C0C7C
	s_barrier                                                  // 0000000058D4: BF8A0000
	v_max3_f32 v49, v68, v69, v52                              // 0000000058D8: D1D30031 04D28B44
	v_max3_f32 v49, v70, v71, v49                              // 0000000058E0: D1D30031 04C68F46
	v_max3_f32 v49, v72, v73, v49                              // 0000000058E8: D1D30031 04C69348
	v_max3_f32 v49, v74, v75, v49                              // 0000000058F0: D1D30031 04C6974A
	v_max3_f32 v49, v76, v77, v49                              // 0000000058F8: D1D30031 04C69B4C
	v_max3_f32 v49, v78, v79, v49                              // 000000005900: D1D30031 04C69F4E
	v_max3_f32 v49, v80, v81, v49                              // 000000005908: D1D30031 04C6A350
	v_max3_f32 v49, v82, v83, v49                              // 000000005910: D1D30031 04C6A752
	v_mfma_f32_32x32x8_bf16 v[100:115], a[176:177], v[84:85], v[100:115]// 000000005918: D3E00064 0D92A9B0
	buffer_load_dword v164, v28, s[16:19], s35 offen           // 000000005920: E0501000 2304A41C
	ds_permute_b32 v48, v56, v49                               // 000000005928: D87C0000 30003138
	v_mfma_f32_32x32x8_bf16 v[100:115], a[178:179], v[86:87], v[100:115]// 000000005930: D3E00064 0D92ADB2
	v_mfma_f32_32x32x8_bf16 v[100:115], a[180:181], v[88:89], v[100:115]// 000000005938: D3E00064 0D92B1B4
	buffer_load_dword v165, v29, s[16:19], s35 offen           // 000000005940: E0501000 2304A51D
	v_perm_b32 v188, v173, v172, s50                           // 000000005948: D1ED00BC 00CB59AD
	v_perm_b32 v192, v173, v172, s49                           // 000000005950: D1ED00C0 00C759AD
	v_perm_b32 v189, v175, v174, s50                           // 000000005958: D1ED00BD 00CB5DAF
	v_perm_b32 v193, v175, v174, s49                           // 000000005960: D1ED00C1 00C75DAF
	v_perm_b32 v190, v177, v176, s50                           // 000000005968: D1ED00BE 00CB61B1
	v_perm_b32 v194, v177, v176, s49                           // 000000005970: D1ED00C2 00C761B1
	v_perm_b32 v191, v179, v178, s50                           // 000000005978: D1ED00BF 00CB65B3
	v_perm_b32 v195, v179, v178, s49                           // 000000005980: D1ED00C3 00C765B3
	v_mfma_f32_32x32x8_bf16 v[100:115], a[182:183], v[90:91], v[100:115]// 000000005988: D3E00064 0D92B5B6
	v_mfma_f32_32x32x8_bf16 v[116:131], a[184:185], v[84:85], v[116:131]// 000000005990: D3E00074 0DD2A9B8
	buffer_load_dword v166, v30, s[16:19], s35 offen           // 000000005998: E0501000 2304A61E
	v_mfma_f32_32x32x8_bf16 v[116:131], a[186:187], v[86:87], v[116:131]// 0000000059A0: D3E00074 0DD2ADBA
	s_waitcnt lgkmcnt(0)                                       // 0000000059A8: BF8CC07F
	s_nop 0                                                    // 0000000059AC: BF800000
	v_mfma_f32_32x32x8_bf16 v[116:131], a[188:189], v[88:89], v[116:131]// 0000000059B0: D3E00074 0DD2B1BC
	buffer_load_dword v167, v31, s[16:19], s35 offen           // 0000000059B8: E0501000 2304A71F
	ds_read_b128 a[144:147], v37 offset:26112                  // 0000000059C0: DBFE6600 90000025
	ds_read_b128 a[148:151], v37 offset:28160                  // 0000000059C8: DBFE6E00 94000025
	ds_read_b128 a[152:155], v37 offset:26368                  // 0000000059D0: DBFE6700 98000025
	ds_read_b128 a[156:159], v37 offset:28416                  // 0000000059D8: DBFE6F00 9C000025
	v_mfma_f32_32x32x8_bf16 v[116:131], a[190:191], v[90:91], v[116:131]// 0000000059E0: D3E00074 0DD2B5BE
	v_mfma_f32_32x32x8_bf16 v[132:147], a[192:193], v[84:85], v[132:147]// 0000000059E8: D3E00084 0E12A9C0
	buffer_load_dword v168, v32, s[16:19], s35 offen           // 0000000059F0: E0501000 2304A820
	v_mfma_f32_32x32x8_bf16 v[132:147], a[194:195], v[86:87], v[132:147]// 0000000059F8: D3E00084 0E12ADC2
	v_mfma_f32_32x32x8_bf16 v[132:147], a[196:197], v[88:89], v[132:147]// 000000005A00: D3E00084 0E12B1C4
	buffer_load_dword v169, v33, s[16:19], s35 offen           // 000000005A08: E0501000 2304A921
	ds_read_b128 a[160:163], v37 offset:26624                  // 000000005A10: DBFE6800 A0000025
	ds_read_b128 a[164:167], v37 offset:28672                  // 000000005A18: DBFE7000 A4000025
	ds_read_b128 a[168:171], v37 offset:26880                  // 000000005A20: DBFE6900 A8000025
	ds_read_b128 a[172:175], v37 offset:28928                  // 000000005A28: DBFE7100 AC000025
	v_mfma_f32_32x32x8_bf16 v[132:147], a[198:199], v[90:91], v[132:147]// 000000005A30: D3E00084 0E12B5C6
	v_mfma_f32_32x32x8_bf16 v[148:163], a[200:201], v[84:85], v[148:163]// 000000005A38: D3E00094 0E52A9C8
	buffer_load_dword v170, v34, s[16:19], s35 offen           // 000000005A40: E0501000 2304AA22
	v_mfma_f32_32x32x8_bf16 v[148:163], a[202:203], v[86:87], v[148:163]// 000000005A48: D3E00094 0E52ADCA
	v_mfma_f32_32x32x8_bf16 v[148:163], a[204:205], v[88:89], v[148:163]// 000000005A50: D3E00094 0E52B1CC
	buffer_load_dword v171, v35, s[16:19], s35 offen           // 000000005A58: E0501000 2304AB23
	v_max_f32_e32 v49, v48, v49                                // 000000005A60: 16626330
	v_sub_f32_e32 v44, v52, v49                                // 000000005A64: 04586334
	v_mov_b32_e32 v52, v49                                     // 000000005A68: 7E680331
	v_mul_f32_e32 v51, s56, v49                                // 000000005A6C: 0A666238
	v_mul_f32_e32 v44, s56, v44                                // 000000005A70: 0A585838
	v_exp_f32_e32 v44, v44                                     // 000000005A74: 7E58412C
	v_add_f32_e64 v60, 0, -v51                                 // 000000005A78: D101003C 40026680
	v_mov_b32_e32 v61, v60                                     // 000000005A80: 7E7A033C
	s_nop 0                                                    // 000000005A84: BF800000
	v_pk_fma_f32 v[68:69], v[68:69], s[56:57], v[60:61]        // 000000005A88: D3B04044 1CF07144
	v_pk_fma_f32 v[70:71], v[70:71], s[56:57], v[60:61]        // 000000005A90: D3B04046 1CF07146
	v_pk_fma_f32 v[72:73], v[72:73], s[56:57], v[60:61]        // 000000005A98: D3B04048 1CF07148
	v_pk_fma_f32 v[74:75], v[74:75], s[56:57], v[60:61]        // 000000005AA0: D3B0404A 1CF0714A
	v_pk_fma_f32 v[76:77], v[76:77], s[56:57], v[60:61]        // 000000005AA8: D3B0404C 1CF0714C
	v_pk_fma_f32 v[78:79], v[78:79], s[56:57], v[60:61]        // 000000005AB0: D3B0404E 1CF0714E
	v_pk_fma_f32 v[80:81], v[80:81], s[56:57], v[60:61]        // 000000005AB8: D3B04050 1CF07150
	v_pk_fma_f32 v[82:83], v[82:83], s[56:57], v[60:61]        // 000000005AC0: D3B04052 1CF07152
	v_mfma_f32_32x32x8_bf16 v[148:163], a[206:207], v[90:91], v[148:163]// 000000005AC8: D3E00094 0E52B5CE
	s_add_i32 s35, s44, s35                                    // 000000005AD0: 8123232C
	s_add_i32 s52, s52, s53                                    // 000000005AD4: 81343534
	s_addk_i32 s39, 0x20                                       // 000000005AD8: B7270020
	s_cmp_lt_i32 s39, s38                                      // 000000005ADC: BF042627
	s_nop 0                                                    // 000000005AE0: BF800000
	v_mov_b32_e32 v45, v44                                     // 000000005AE4: 7E5A032C
	v_mul_f32_e32 v100, v44, v100                              // 000000005AE8: 0AC8C92C
	v_mul_f32_e32 v101, v44, v101                              // 000000005AEC: 0ACACB2C
	v_pk_mul_f32 v[102:103], v[44:45], v[102:103]              // 000000005AF0: D3B14066 1802CD2C
	v_pk_mul_f32 v[104:105], v[44:45], v[104:105]              // 000000005AF8: D3B14068 1802D12C
	v_pk_mul_f32 v[106:107], v[44:45], v[106:107]              // 000000005B00: D3B1406A 1802D52C
	v_pk_mul_f32 v[108:109], v[44:45], v[108:109]              // 000000005B08: D3B1406C 1802D92C
	v_pk_mul_f32 v[110:111], v[44:45], v[110:111]              // 000000005B10: D3B1406E 1802DD2C
	v_pk_mul_f32 v[112:113], v[44:45], v[112:113]              // 000000005B18: D3B14070 1802E12C
	v_pk_mul_f32 v[114:115], v[44:45], v[114:115]              // 000000005B20: D3B14072 1802E52C
	v_pk_mul_f32 v[116:117], v[44:45], v[116:117]              // 000000005B28: D3B14074 1802E92C
	v_pk_mul_f32 v[118:119], v[44:45], v[118:119]              // 000000005B30: D3B14076 1802ED2C
	v_pk_mul_f32 v[120:121], v[44:45], v[120:121]              // 000000005B38: D3B14078 1802F12C
	v_pk_mul_f32 v[122:123], v[44:45], v[122:123]              // 000000005B40: D3B1407A 1802F52C
	v_pk_mul_f32 v[124:125], v[44:45], v[124:125]              // 000000005B48: D3B1407C 1802F92C
	v_pk_mul_f32 v[126:127], v[44:45], v[126:127]              // 000000005B50: D3B1407E 1802FD2C
	v_pk_mul_f32 v[128:129], v[44:45], v[128:129]              // 000000005B58: D3B14080 1803012C
	v_pk_mul_f32 v[130:131], v[44:45], v[130:131]              // 000000005B60: D3B14082 1803052C
	v_pk_mul_f32 v[132:133], v[44:45], v[132:133]              // 000000005B68: D3B14084 1803092C
	v_pk_mul_f32 v[134:135], v[44:45], v[134:135]              // 000000005B70: D3B14086 18030D2C
	v_pk_mul_f32 v[136:137], v[44:45], v[136:137]              // 000000005B78: D3B14088 1803112C
	v_pk_mul_f32 v[138:139], v[44:45], v[138:139]              // 000000005B80: D3B1408A 1803152C
	v_pk_mul_f32 v[140:141], v[44:45], v[140:141]              // 000000005B88: D3B1408C 1803192C
	v_pk_mul_f32 v[142:143], v[44:45], v[142:143]              // 000000005B90: D3B1408E 18031D2C
	v_pk_mul_f32 v[144:145], v[44:45], v[144:145]              // 000000005B98: D3B14090 1803212C
	v_pk_mul_f32 v[146:147], v[44:45], v[146:147]              // 000000005BA0: D3B14092 1803252C
	v_pk_mul_f32 v[148:149], v[44:45], v[148:149]              // 000000005BA8: D3B14094 1803292C
	v_pk_mul_f32 v[150:151], v[44:45], v[150:151]              // 000000005BB0: D3B14096 18032D2C
	v_pk_mul_f32 v[152:153], v[44:45], v[152:153]              // 000000005BB8: D3B14098 1803312C
	v_pk_mul_f32 v[154:155], v[44:45], v[154:155]              // 000000005BC0: D3B1409A 1803352C
	v_pk_mul_f32 v[156:157], v[44:45], v[156:157]              // 000000005BC8: D3B1409C 1803392C
	v_pk_mul_f32 v[158:159], v[44:45], v[158:159]              // 000000005BD0: D3B1409E 18033D2C
	v_pk_mul_f32 v[160:161], v[44:45], v[160:161]              // 000000005BD8: D3B140A0 1803412C
	v_pk_mul_f32 v[162:163], v[44:45], v[162:163]              // 000000005BE0: D3B140A2 1803452C
	s_cbranch_scc0 label_0F5A                                  // 000000005BE8: BF84051F
	s_branch label_051F                                        // 000000005BEC: BF82FAE3

0000000000005bf0 <label_0A3C>:
	s_nop 0                                                    // 000000005BF0: BF800000

0000000000005bf4 <label_0A3D>:
	s_waitcnt vmcnt(8) lgkmcnt(8)                              // 000000005BF4: BF8C0878
	s_barrier                                                  // 000000005BF8: BF8A0000
	v_mfma_f32_32x32x8_bf16 v[84:99], a[96:97], a[0:1], 0      // 000000005BFC: D3E00054 1A020160
	v_mfma_f32_32x32x8_bf16 v[84:99], a[98:99], a[2:3], v[84:99]// 000000005C04: D3E00054 1D520562
	s_mov_b32 m0, s69                                          // 000000005C0C: BEFC0045
	buffer_load_dword v16, s[12:15], s60 offen lds             // 000000005C10: E0511000 3C030010
	ds_write_b128 v38, v[188:191] offset:34432                 // 000000005C18: D9BE8680 0000BC26
	v_mfma_f32_32x32x8_bf16 v[84:99], a[100:101], a[4:5], v[84:99]// 000000005C20: D3E00054 1D520964
	v_mfma_f32_32x32x8_bf16 v[84:99], a[102:103], a[6:7], v[84:99]// 000000005C28: D3E00054 1D520D66
	s_add_u32 m0, 0x440, m0                                    // 000000005C30: 807C7CFF 00000440
	buffer_load_dword v17, s[12:15], s60 offen lds             // 000000005C38: E0511000 3C030011
	ds_write_b128 v38, v[192:195] offset:38592                 // 000000005C40: D9BE96C0 0000C026
	v_mfma_f32_32x32x8_bf16 v[84:99], a[104:105], a[8:9], v[84:99]// 000000005C48: D3E00054 1D521168
	v_mfma_f32_32x32x8_bf16 v[84:99], a[106:107], a[10:11], v[84:99]// 000000005C50: D3E00054 1D52156A
	s_add_u32 m0, 0x440, m0                                    // 000000005C58: 807C7CFF 00000440
	buffer_load_dword v18, s[12:15], s60 offen lds             // 000000005C60: E0511000 3C030012
	ds_read_b128 a[48:51], v36                                 // 000000005C68: DBFE0000 30000024
	ds_read_b128 a[52:55], v36 offset:32                       // 000000005C70: DBFE0020 34000024
	v_mfma_f32_32x32x8_bf16 v[84:99], a[108:109], a[12:13], v[84:99]// 000000005C78: D3E00054 1D52196C
	v_mfma_f32_32x32x8_bf16 v[84:99], a[110:111], a[14:15], v[84:99]// 000000005C80: D3E00054 1D521D6E
	s_add_u32 m0, 0x440, m0                                    // 000000005C88: 807C7CFF 00000440
	buffer_load_dword v19, s[12:15], s60 offen lds             // 000000005C90: E0511000 3C030013
	ds_read_b128 a[56:59], v36 offset:64                       // 000000005C98: DBFE0040 38000024
	ds_read_b128 a[60:63], v36 offset:96                       // 000000005CA0: DBFE0060 3C000024
	v_mfma_f32_32x32x8_bf16 v[84:99], a[112:113], a[16:17], v[84:99]// 000000005CA8: D3E00054 1D522170
	v_mfma_f32_32x32x8_bf16 v[84:99], a[114:115], a[18:19], v[84:99]// 000000005CB0: D3E00054 1D522572
	s_add_u32 m0, 0x440, m0                                    // 000000005CB8: 807C7CFF 00000440
	buffer_load_dword v20, s[12:15], s60 offen lds             // 000000005CC0: E0511000 3C030014
	ds_read_b128 a[64:67], v36 offset:4352                     // 000000005CC8: DBFE1100 40000024
	ds_read_b128 a[68:71], v36 offset:4384                     // 000000005CD0: DBFE1120 44000024
	v_mfma_f32_32x32x8_bf16 v[84:99], a[116:117], a[20:21], v[84:99]// 000000005CD8: D3E00054 1D522974
	v_mfma_f32_32x32x8_bf16 v[84:99], a[118:119], a[22:23], v[84:99]// 000000005CE0: D3E00054 1D522D76
	s_add_u32 m0, 0x440, m0                                    // 000000005CE8: 807C7CFF 00000440
	buffer_load_dword v21, s[12:15], s60 offen lds             // 000000005CF0: E0511000 3C030015
	ds_read_b128 a[72:75], v36 offset:4416                     // 000000005CF8: DBFE1140 48000024
	ds_read_b128 a[76:79], v36 offset:4448                     // 000000005D00: DBFE1160 4C000024
	v_mfma_f32_32x32x8_bf16 v[84:99], a[120:121], a[24:25], v[84:99]// 000000005D08: D3E00054 1D523178
	v_mfma_f32_32x32x8_bf16 v[84:99], a[122:123], a[26:27], v[84:99]// 000000005D10: D3E00054 1D52357A
	s_add_u32 m0, 0x440, m0                                    // 000000005D18: 807C7CFF 00000440
	buffer_load_dword v22, s[12:15], s60 offen lds             // 000000005D20: E0511000 3C030016
	ds_read_b128 a[80:83], v36 offset:8704                     // 000000005D28: DBFE2200 50000024
	ds_read_b128 a[84:87], v36 offset:8736                     // 000000005D30: DBFE2220 54000024
	v_mfma_f32_32x32x8_bf16 v[84:99], a[124:125], a[28:29], v[84:99]// 000000005D38: D3E00054 1D52397C
	v_mfma_f32_32x32x8_bf16 v[84:99], a[126:127], a[30:31], v[84:99]// 000000005D40: D3E00054 1D523D7E
	s_add_u32 m0, 0x440, m0                                    // 000000005D48: 807C7CFF 00000440
	buffer_load_dword v23, s[12:15], s60 offen lds             // 000000005D50: E0511000 3C030017
	ds_read_b128 a[88:91], v36 offset:8768                     // 000000005D58: DBFE2240 58000024
	ds_read_b128 a[92:95], v36 offset:8800                     // 000000005D60: DBFE2260 5C000024
	v_mfma_f32_32x32x8_bf16 v[84:99], a[128:129], a[32:33], v[84:99]// 000000005D68: D3E00054 1D524180
	v_mfma_f32_32x32x8_bf16 v[84:99], a[130:131], a[34:35], v[84:99]// 000000005D70: D3E00054 1D524582
	s_add_u32 m0, 0x440, m0                                    // 000000005D78: 807C7CFF 00000440
	buffer_load_dword v24, s[12:15], s60 offen lds             // 000000005D80: E0511000 3C030018
	v_mfma_f32_32x32x8_bf16 v[84:99], a[132:133], a[36:37], v[84:99]// 000000005D88: D3E00054 1D524984
	v_mfma_f32_32x32x8_bf16 v[84:99], a[134:135], a[38:39], v[84:99]// 000000005D90: D3E00054 1D524D86
	s_add_u32 m0, 0x440, m0                                    // 000000005D98: 807C7CFF 00000440
	buffer_load_dword v25, s[12:15], s60 offen lds             // 000000005DA0: E0511000 3C030019
	v_mfma_f32_32x32x8_bf16 v[84:99], a[136:137], a[40:41], v[84:99]// 000000005DA8: D3E00054 1D525188
	v_mfma_f32_32x32x8_bf16 v[84:99], a[138:139], a[42:43], v[84:99]// 000000005DB0: D3E00054 1D52558A
	s_add_u32 m0, 0x440, m0                                    // 000000005DB8: 807C7CFF 00000440
	buffer_load_dword v26, s[12:15], s60 offen lds             // 000000005DC0: E0511000 3C03001A
	v_mfma_f32_32x32x8_bf16 v[84:99], a[140:141], a[44:45], v[84:99]// 000000005DC8: D3E00054 1D52598C
	s_nop 0                                                    // 000000005DD0: BF800000
	v_exp_f32_e32 v68, v68                                     // 000000005DD4: 7E884144
	v_exp_f32_e32 v69, v69                                     // 000000005DD8: 7E8A4145
	v_exp_f32_e32 v70, v70                                     // 000000005DDC: 7E8C4146
	v_exp_f32_e32 v71, v71                                     // 000000005DE0: 7E8E4147
	v_exp_f32_e32 v72, v72                                     // 000000005DE4: 7E904148
	v_exp_f32_e32 v73, v73                                     // 000000005DE8: 7E924149
	v_exp_f32_e32 v74, v74                                     // 000000005DEC: 7E94414A
	v_exp_f32_e32 v75, v75                                     // 000000005DF0: 7E96414B
	v_exp_f32_e32 v76, v76                                     // 000000005DF4: 7E98414C
	v_exp_f32_e32 v77, v77                                     // 000000005DF8: 7E9A414D
	v_exp_f32_e32 v78, v78                                     // 000000005DFC: 7E9C414E
	v_exp_f32_e32 v79, v79                                     // 000000005E00: 7E9E414F
	v_exp_f32_e32 v80, v80                                     // 000000005E04: 7EA04150
	v_exp_f32_e32 v81, v81                                     // 000000005E08: 7EA24151
	v_exp_f32_e32 v82, v82                                     // 000000005E0C: 7EA44152
	v_exp_f32_e32 v83, v83                                     // 000000005E10: 7EA64153
	v_mul_f32_e32 v46, v44, v46                                // 000000005E14: 0A5C5D2C
	v_pk_add_f32 v[62:63], v[68:69], v[70:71]                  // 000000005E18: D3B2403E 18028D44
	v_pk_add_f32 v[62:63], v[72:73], v[62:63]                  // 000000005E20: D3B2403E 18027D48
	v_pk_add_f32 v[62:63], v[74:75], v[62:63]                  // 000000005E28: D3B2403E 18027D4A
	v_pk_add_f32 v[62:63], v[76:77], v[62:63]                  // 000000005E30: D3B2403E 18027D4C
	v_pk_add_f32 v[62:63], v[78:79], v[62:63]                  // 000000005E38: D3B2403E 18027D4E
	v_pk_add_f32 v[62:63], v[80:81], v[62:63]                  // 000000005E40: D3B2403E 18027D50
	v_pk_add_f32 v[62:63], v[82:83], v[62:63]                  // 000000005E48: D3B2403E 18027D52
	v_add_f32_e32 v62, v62, v63                                // 000000005E50: 027C7F3E
	v_add_f32_e32 v46, v62, v46                                // 000000005E54: 025C5D3E
	v_cmp_u_f32_e64 s[70:71], v68, v68                         // 000000005E58: D0480046 00028944
	v_bfe_u32 v64, v68, 16, 1                                  // 000000005E60: D1C80040 02052144
	v_add3_u32 v64, v68, v64, v67                              // 000000005E68: D1FF0040 050E8144
	v_cndmask_b32_e64 v40, v64, v66, s[70:71]                  // 000000005E70: D1000028 011A8540
	v_lshrrev_b32_e32 v40, 16, v40                             // 000000005E78: 20505090
	v_cmp_u_f32_e64 s[70:71], v69, v69                         // 000000005E7C: D0480046 00028B45
	v_bfe_u32 v64, v69, 16, 1                                  // 000000005E84: D1C80040 02052145
	v_add3_u32 v64, v69, v64, v67                              // 000000005E8C: D1FF0040 050E8145
	v_cndmask_b32_e64 v41, v64, v66, s[70:71]                  // 000000005E94: D1000029 011A8540
	v_and_or_b32 v68, v41, v65, v40                            // 000000005E9C: D2010044 04A28329
	v_cmp_u_f32_e64 s[70:71], v70, v70                         // 000000005EA4: D0480046 00028D46
	v_bfe_u32 v64, v70, 16, 1                                  // 000000005EAC: D1C80040 02052146
	v_add3_u32 v64, v70, v64, v67                              // 000000005EB4: D1FF0040 050E8146
	v_cndmask_b32_e64 v40, v64, v66, s[70:71]                  // 000000005EBC: D1000028 011A8540
	v_lshrrev_b32_e32 v40, 16, v40                             // 000000005EC4: 20505090
	v_cmp_u_f32_e64 s[70:71], v71, v71                         // 000000005EC8: D0480046 00028F47
	v_bfe_u32 v64, v71, 16, 1                                  // 000000005ED0: D1C80040 02052147
	v_add3_u32 v64, v71, v64, v67                              // 000000005ED8: D1FF0040 050E8147
	v_cndmask_b32_e64 v41, v64, v66, s[70:71]                  // 000000005EE0: D1000029 011A8540
	v_and_or_b32 v69, v41, v65, v40                            // 000000005EE8: D2010045 04A28329
	v_cmp_u_f32_e64 s[70:71], v72, v72                         // 000000005EF0: D0480046 00029148
	v_bfe_u32 v64, v72, 16, 1                                  // 000000005EF8: D1C80040 02052148
	v_add3_u32 v64, v72, v64, v67                              // 000000005F00: D1FF0040 050E8148
	v_cndmask_b32_e64 v40, v64, v66, s[70:71]                  // 000000005F08: D1000028 011A8540
	v_lshrrev_b32_e32 v40, 16, v40                             // 000000005F10: 20505090
	v_cmp_u_f32_e64 s[70:71], v73, v73                         // 000000005F14: D0480046 00029349
	v_bfe_u32 v64, v73, 16, 1                                  // 000000005F1C: D1C80040 02052149
	v_add3_u32 v64, v73, v64, v67                              // 000000005F24: D1FF0040 050E8149
	v_cndmask_b32_e64 v41, v64, v66, s[70:71]                  // 000000005F2C: D1000029 011A8540
	v_and_or_b32 v70, v41, v65, v40                            // 000000005F34: D2010046 04A28329
	v_cmp_u_f32_e64 s[70:71], v74, v74                         // 000000005F3C: D0480046 0002954A
	v_bfe_u32 v64, v74, 16, 1                                  // 000000005F44: D1C80040 0205214A
	v_add3_u32 v64, v74, v64, v67                              // 000000005F4C: D1FF0040 050E814A
	v_cndmask_b32_e64 v40, v64, v66, s[70:71]                  // 000000005F54: D1000028 011A8540
	v_lshrrev_b32_e32 v40, 16, v40                             // 000000005F5C: 20505090
	v_cmp_u_f32_e64 s[70:71], v75, v75                         // 000000005F60: D0480046 0002974B
	v_bfe_u32 v64, v75, 16, 1                                  // 000000005F68: D1C80040 0205214B
	v_add3_u32 v64, v75, v64, v67                              // 000000005F70: D1FF0040 050E814B
	v_cndmask_b32_e64 v41, v64, v66, s[70:71]                  // 000000005F78: D1000029 011A8540
	v_and_or_b32 v71, v41, v65, v40                            // 000000005F80: D2010047 04A28329
	v_cmp_u_f32_e64 s[70:71], v76, v76                         // 000000005F88: D0480046 0002994C
	v_bfe_u32 v64, v76, 16, 1                                  // 000000005F90: D1C80040 0205214C
	v_add3_u32 v64, v76, v64, v67                              // 000000005F98: D1FF0040 050E814C
	v_cndmask_b32_e64 v40, v64, v66, s[70:71]                  // 000000005FA0: D1000028 011A8540
	v_lshrrev_b32_e32 v40, 16, v40                             // 000000005FA8: 20505090
	v_cmp_u_f32_e64 s[70:71], v77, v77                         // 000000005FAC: D0480046 00029B4D
	v_bfe_u32 v64, v77, 16, 1                                  // 000000005FB4: D1C80040 0205214D
	v_add3_u32 v64, v77, v64, v67                              // 000000005FBC: D1FF0040 050E814D
	v_cndmask_b32_e64 v41, v64, v66, s[70:71]                  // 000000005FC4: D1000029 011A8540
	v_and_or_b32 v72, v41, v65, v40                            // 000000005FCC: D2010048 04A28329
	v_cmp_u_f32_e64 s[70:71], v78, v78                         // 000000005FD4: D0480046 00029D4E
	v_bfe_u32 v64, v78, 16, 1                                  // 000000005FDC: D1C80040 0205214E
	v_add3_u32 v64, v78, v64, v67                              // 000000005FE4: D1FF0040 050E814E
	v_cndmask_b32_e64 v40, v64, v66, s[70:71]                  // 000000005FEC: D1000028 011A8540
	v_lshrrev_b32_e32 v40, 16, v40                             // 000000005FF4: 20505090
	v_cmp_u_f32_e64 s[70:71], v79, v79                         // 000000005FF8: D0480046 00029F4F
	v_bfe_u32 v64, v79, 16, 1                                  // 000000006000: D1C80040 0205214F
	v_add3_u32 v64, v79, v64, v67                              // 000000006008: D1FF0040 050E814F
	v_cndmask_b32_e64 v41, v64, v66, s[70:71]                  // 000000006010: D1000029 011A8540
	v_and_or_b32 v73, v41, v65, v40                            // 000000006018: D2010049 04A28329
	v_cmp_u_f32_e64 s[70:71], v80, v80                         // 000000006020: D0480046 0002A150
	v_bfe_u32 v64, v80, 16, 1                                  // 000000006028: D1C80040 02052150
	v_add3_u32 v64, v80, v64, v67                              // 000000006030: D1FF0040 050E8150
	v_cndmask_b32_e64 v40, v64, v66, s[70:71]                  // 000000006038: D1000028 011A8540
	v_lshrrev_b32_e32 v40, 16, v40                             // 000000006040: 20505090
	v_cmp_u_f32_e64 s[70:71], v81, v81                         // 000000006044: D0480046 0002A351
	v_bfe_u32 v64, v81, 16, 1                                  // 00000000604C: D1C80040 02052151
	v_add3_u32 v64, v81, v64, v67                              // 000000006054: D1FF0040 050E8151
	v_cndmask_b32_e64 v41, v64, v66, s[70:71]                  // 00000000605C: D1000029 011A8540
	v_and_or_b32 v74, v41, v65, v40                            // 000000006064: D201004A 04A28329
	v_cmp_u_f32_e64 s[70:71], v82, v82                         // 00000000606C: D0480046 0002A552
	v_bfe_u32 v64, v82, 16, 1                                  // 000000006074: D1C80040 02052152
	v_add3_u32 v64, v82, v64, v67                              // 00000000607C: D1FF0040 050E8152
	v_cndmask_b32_e64 v40, v64, v66, s[70:71]                  // 000000006084: D1000028 011A8540
	v_lshrrev_b32_e32 v40, 16, v40                             // 00000000608C: 20505090
	v_cmp_u_f32_e64 s[70:71], v83, v83                         // 000000006090: D0480046 0002A753
	v_bfe_u32 v64, v83, 16, 1                                  // 000000006098: D1C80040 02052153
	v_add3_u32 v64, v83, v64, v67                              // 0000000060A0: D1FF0040 050E8153
	v_cndmask_b32_e64 v41, v64, v66, s[70:71]                  // 0000000060A8: D1000029 011A8540
	v_and_or_b32 v75, v41, v65, v40                            // 0000000060B0: D201004B 04A28329
	v_mfma_f32_32x32x8_bf16 v[84:99], a[142:143], a[46:47], v[84:99]// 0000000060B8: D3E00054 1D525D8E
	s_add_u32 m0, 0x440, m0                                    // 0000000060C0: 807C7CFF 00000440
	buffer_load_dword v27, s[12:15], s60 offen lds             // 0000000060C8: E0511000 3C03001B
	s_add_i32 s60, s43, s60                                    // 0000000060D0: 813C3C2B
	s_cmp_lt_i32 s52, s51                                      // 0000000060D4: BF043334
	s_cbranch_scc1 label_0C04                                  // 0000000060D8: BF85008D
	s_nop 0                                                    // 0000000060DC: BF800000
	s_sub_i32 s40, s51, s52                                    // 0000000060E0: 81A83433
	s_sub_i32 s41, s7, s30                                     // 0000000060E4: 81A91E07
	s_and_b32 s41, s41, 31                                     // 0000000060E8: 86299F29
	s_add_i32 s40, s40, s41                                    // 0000000060EC: 81282928
	v_add_i32 v40, v53, s40                                    // 0000000060F0: D29C0028 00005135
	v_cmp_lt_i32_e64 s[72:73], v40, 0                          // 0000000060F8: D0C10048 00010128
	v_cmp_lt_i32_e64 s[74:75], v40, 1                          // 000000006100: D0C1004A 00010328
	v_cndmask_b32_e64 v84, v84, v55, s[72:73]                  // 000000006108: D1000054 01226F54
	v_cndmask_b32_e64 v85, v85, v55, s[74:75]                  // 000000006110: D1000055 012A6F55
	v_cmp_lt_i32_e64 s[72:73], v40, 2                          // 000000006118: D0C10048 00010528
	v_cmp_lt_i32_e64 s[74:75], v40, 3                          // 000000006120: D0C1004A 00010728
	v_cndmask_b32_e64 v86, v86, v55, s[72:73]                  // 000000006128: D1000056 01226F56
	v_cndmask_b32_e64 v87, v87, v55, s[74:75]                  // 000000006130: D1000057 012A6F57
	v_cmp_lt_i32_e64 s[72:73], v40, 8                          // 000000006138: D0C10048 00011128
	v_cmp_lt_i32_e64 s[74:75], v40, 9                          // 000000006140: D0C1004A 00011328
	v_cndmask_b32_e64 v88, v88, v55, s[72:73]                  // 000000006148: D1000058 01226F58
	v_cndmask_b32_e64 v89, v89, v55, s[74:75]                  // 000000006150: D1000059 012A6F59
	v_cmp_lt_i32_e64 s[72:73], v40, 10                         // 000000006158: D0C10048 00011528
	v_cmp_lt_i32_e64 s[74:75], v40, 11                         // 000000006160: D0C1004A 00011728
	v_cndmask_b32_e64 v90, v90, v55, s[72:73]                  // 000000006168: D100005A 01226F5A
	v_cndmask_b32_e64 v91, v91, v55, s[74:75]                  // 000000006170: D100005B 012A6F5B
	v_cmp_lt_i32_e64 s[72:73], v40, 16                         // 000000006178: D0C10048 00012128
	v_cmp_lt_i32_e64 s[74:75], v40, 17                         // 000000006180: D0C1004A 00012328
	v_cndmask_b32_e64 v92, v92, v55, s[72:73]                  // 000000006188: D100005C 01226F5C
	v_cndmask_b32_e64 v93, v93, v55, s[74:75]                  // 000000006190: D100005D 012A6F5D
	v_cmp_lt_i32_e64 s[72:73], v40, 18                         // 000000006198: D0C10048 00012528
	v_cmp_lt_i32_e64 s[74:75], v40, 19                         // 0000000061A0: D0C1004A 00012728
	v_cndmask_b32_e64 v94, v94, v55, s[72:73]                  // 0000000061A8: D100005E 01226F5E
	v_cndmask_b32_e64 v95, v95, v55, s[74:75]                  // 0000000061B0: D100005F 012A6F5F
	v_cmp_lt_i32_e64 s[72:73], v40, 24                         // 0000000061B8: D0C10048 00013128
	v_cmp_lt_i32_e64 s[74:75], v40, 25                         // 0000000061C0: D0C1004A 00013328
	v_cndmask_b32_e64 v96, v96, v55, s[72:73]                  // 0000000061C8: D1000060 01226F60
	v_cndmask_b32_e64 v97, v97, v55, s[74:75]                  // 0000000061D0: D1000061 012A6F61
	v_cmp_lt_i32_e64 s[72:73], v40, 26                         // 0000000061D8: D0C10048 00013528
	v_cmp_lt_i32_e64 s[74:75], v40, 27                         // 0000000061E0: D0C1004A 00013728
	v_cndmask_b32_e64 v98, v98, v55, s[72:73]                  // 0000000061E8: D1000062 01226F62
	v_cndmask_b32_e64 v99, v99, v55, s[74:75]                  // 0000000061F0: D1000063 012A6F63
	s_nop 0                                                    // 0000000061F8: BF800000
	s_cmp_lt_i32 s52, s54                                      // 0000000061FC: BF043634
	s_cbranch_scc1 label_0C04                                  // 000000006200: BF850043
	s_sub_i32 s40, s7, s52                                     // 000000006204: 81A83407
	v_sub_i32 v40, s40, v54                                    // 000000006208: D29D0028 00026C28
	v_cmp_lt_i32_e64 s[72:73], 0, v40                          // 000000006210: D0C10048 00025080
	v_cmp_lt_i32_e64 s[74:75], 1, v40                          // 000000006218: D0C1004A 00025081
	v_cndmask_b32_e64 v84, v55, v84, s[72:73]                  // 000000006220: D1000054 0122A937
	v_cndmask_b32_e64 v85, v55, v85, s[74:75]                  // 000000006228: D1000055 012AAB37
	v_cmp_lt_i32_e64 s[72:73], 2, v40                          // 000000006230: D0C10048 00025082
	v_cmp_lt_i32_e64 s[74:75], 3, v40                          // 000000006238: D0C1004A 00025083
	v_cndmask_b32_e64 v86, v55, v86, s[72:73]                  // 000000006240: D1000056 0122AD37
	v_cndmask_b32_e64 v87, v55, v87, s[74:75]                  // 000000006248: D1000057 012AAF37
	v_cmp_lt_i32_e64 s[72:73], 8, v40                          // 000000006250: D0C10048 00025088
	v_cmp_lt_i32_e64 s[74:75], 9, v40                          // 000000006258: D0C1004A 00025089
	v_cndmask_b32_e64 v88, v55, v88, s[72:73]                  // 000000006260: D1000058 0122B137
	v_cndmask_b32_e64 v89, v55, v89, s[74:75]                  // 000000006268: D1000059 012AB337
	v_cmp_lt_i32_e64 s[72:73], 10, v40                         // 000000006270: D0C10048 0002508A
	v_cmp_lt_i32_e64 s[74:75], 11, v40                         // 000000006278: D0C1004A 0002508B
	v_cndmask_b32_e64 v90, v55, v90, s[72:73]                  // 000000006280: D100005A 0122B537
	v_cndmask_b32_e64 v91, v55, v91, s[74:75]                  // 000000006288: D100005B 012AB737
	v_cmp_lt_i32_e64 s[72:73], 16, v40                         // 000000006290: D0C10048 00025090
	v_cmp_lt_i32_e64 s[74:75], 17, v40                         // 000000006298: D0C1004A 00025091
	v_cndmask_b32_e64 v92, v55, v92, s[72:73]                  // 0000000062A0: D100005C 0122B937
	v_cndmask_b32_e64 v93, v55, v93, s[74:75]                  // 0000000062A8: D100005D 012ABB37
	v_cmp_lt_i32_e64 s[72:73], 18, v40                         // 0000000062B0: D0C10048 00025092
	v_cmp_lt_i32_e64 s[74:75], 19, v40                         // 0000000062B8: D0C1004A 00025093
	v_cndmask_b32_e64 v94, v55, v94, s[72:73]                  // 0000000062C0: D100005E 0122BD37
	v_cndmask_b32_e64 v95, v55, v95, s[74:75]                  // 0000000062C8: D100005F 012ABF37
	v_cmp_lt_i32_e64 s[72:73], 24, v40                         // 0000000062D0: D0C10048 00025098
	v_cmp_lt_i32_e64 s[74:75], 25, v40                         // 0000000062D8: D0C1004A 00025099
	v_cndmask_b32_e64 v96, v55, v96, s[72:73]                  // 0000000062E0: D1000060 0122C137
	v_cndmask_b32_e64 v97, v55, v97, s[74:75]                  // 0000000062E8: D1000061 012AC337
	v_cmp_lt_i32_e64 s[72:73], 26, v40                         // 0000000062F0: D0C10048 0002509A
	v_cmp_lt_i32_e64 s[74:75], 27, v40                         // 0000000062F8: D0C1004A 0002509B
	v_cndmask_b32_e64 v98, v55, v98, s[72:73]                  // 000000006300: D1000062 0122C537
	v_cndmask_b32_e64 v99, v55, v99, s[74:75]                  // 000000006308: D1000063 012AC737

0000000000006310 <label_0C04>:
	s_waitcnt vmcnt(12) lgkmcnt(12)                            // 000000006310: BF8C0C7C
	s_barrier                                                  // 000000006314: BF8A0000
	v_max3_f32 v49, v84, v85, v52                              // 000000006318: D1D30031 04D2AB54
	v_max3_f32 v49, v86, v87, v49                              // 000000006320: D1D30031 04C6AF56
	v_max3_f32 v49, v88, v89, v49                              // 000000006328: D1D30031 04C6B358
	v_max3_f32 v49, v90, v91, v49                              // 000000006330: D1D30031 04C6B75A
	v_max3_f32 v49, v92, v93, v49                              // 000000006338: D1D30031 04C6BB5C
	v_max3_f32 v49, v94, v95, v49                              // 000000006340: D1D30031 04C6BF5E
	v_max3_f32 v49, v96, v97, v49                              // 000000006348: D1D30031 04C6C360
	v_max3_f32 v49, v98, v99, v49                              // 000000006350: D1D30031 04C6C762
	v_mfma_f32_32x32x8_bf16 v[100:115], a[144:145], v[68:69], v[100:115]// 000000006358: D3E00064 0D928990
	ds_permute_b32 v48, v56, v49                               // 000000006360: D87C0000 30003138
	v_mfma_f32_32x32x8_bf16 v[100:115], a[146:147], v[70:71], v[100:115]// 000000006368: D3E00064 0D928D92
	buffer_load_dword v172, v28, s[16:19], s35 offen           // 000000006370: E0501000 2304AC1C
	v_mfma_f32_32x32x8_bf16 v[100:115], a[148:149], v[72:73], v[100:115]// 000000006378: D3E00064 0D929194
	v_perm_b32 v180, v165, v164, s50                           // 000000006380: D1ED00B4 00CB49A5
	v_perm_b32 v184, v165, v164, s49                           // 000000006388: D1ED00B8 00C749A5
	v_perm_b32 v181, v167, v166, s50                           // 000000006390: D1ED00B5 00CB4DA7
	v_perm_b32 v185, v167, v166, s49                           // 000000006398: D1ED00B9 00C74DA7
	v_perm_b32 v182, v169, v168, s50                           // 0000000063A0: D1ED00B6 00CB51A9
	v_perm_b32 v186, v169, v168, s49                           // 0000000063A8: D1ED00BA 00C751A9
	v_perm_b32 v183, v171, v170, s50                           // 0000000063B0: D1ED00B7 00CB55AB
	v_perm_b32 v187, v171, v170, s49                           // 0000000063B8: D1ED00BB 00C755AB
	v_mfma_f32_32x32x8_bf16 v[100:115], a[150:151], v[74:75], v[100:115]// 0000000063C0: D3E00064 0D929596
	buffer_load_dword v173, v29, s[16:19], s35 offen           // 0000000063C8: E0501000 2304AD1D
	v_mfma_f32_32x32x8_bf16 v[116:131], a[152:153], v[68:69], v[116:131]// 0000000063D0: D3E00074 0DD28998
	v_mfma_f32_32x32x8_bf16 v[116:131], a[154:155], v[70:71], v[116:131]// 0000000063D8: D3E00074 0DD28D9A
	buffer_load_dword v174, v30, s[16:19], s35 offen           // 0000000063E0: E0501000 2304AE1E
	s_waitcnt lgkmcnt(0)                                       // 0000000063E8: BF8CC07F
	s_nop 0                                                    // 0000000063EC: BF800000
	v_mfma_f32_32x32x8_bf16 v[116:131], a[156:157], v[72:73], v[116:131]// 0000000063F0: D3E00074 0DD2919C
	v_mfma_f32_32x32x8_bf16 v[116:131], a[158:159], v[74:75], v[116:131]// 0000000063F8: D3E00074 0DD2959E
	buffer_load_dword v175, v31, s[16:19], s35 offen           // 000000006400: E0501000 2304AF1F
	ds_read_b128 a[176:179], v37 offset:34432                  // 000000006408: DBFE8680 B0000025
	ds_read_b128 a[180:183], v37 offset:36480                  // 000000006410: DBFE8E80 B4000025
	ds_read_b128 a[184:187], v37 offset:34688                  // 000000006418: DBFE8780 B8000025
	ds_read_b128 a[188:191], v37 offset:36736                  // 000000006420: DBFE8F80 BC000025
	v_mfma_f32_32x32x8_bf16 v[132:147], a[160:161], v[68:69], v[132:147]// 000000006428: D3E00084 0E1289A0
	v_mfma_f32_32x32x8_bf16 v[132:147], a[162:163], v[70:71], v[132:147]// 000000006430: D3E00084 0E128DA2
	buffer_load_dword v176, v32, s[16:19], s35 offen           // 000000006438: E0501000 2304B020
	v_mfma_f32_32x32x8_bf16 v[132:147], a[164:165], v[72:73], v[132:147]// 000000006440: D3E00084 0E1291A4
	v_mfma_f32_32x32x8_bf16 v[132:147], a[166:167], v[74:75], v[132:147]// 000000006448: D3E00084 0E1295A6
	buffer_load_dword v177, v33, s[16:19], s35 offen           // 000000006450: E0501000 2304B121
	ds_read_b128 a[192:195], v37 offset:34944                  // 000000006458: DBFE8880 C0000025
	ds_read_b128 a[196:199], v37 offset:36992                  // 000000006460: DBFE9080 C4000025
	ds_read_b128 a[200:203], v37 offset:35200                  // 000000006468: DBFE8980 C8000025
	ds_read_b128 a[204:207], v37 offset:37248                  // 000000006470: DBFE9180 CC000025
	v_mfma_f32_32x32x8_bf16 v[148:163], a[168:169], v[68:69], v[148:163]// 000000006478: D3E00094 0E5289A8
	v_mfma_f32_32x32x8_bf16 v[148:163], a[170:171], v[70:71], v[148:163]// 000000006480: D3E00094 0E528DAA
	buffer_load_dword v178, v34, s[16:19], s35 offen           // 000000006488: E0501000 2304B222
	v_mfma_f32_32x32x8_bf16 v[148:163], a[172:173], v[72:73], v[148:163]// 000000006490: D3E00094 0E5291AC
	v_max_f32_e32 v49, v48, v49                                // 000000006498: 16626330
	v_sub_f32_e32 v44, v52, v49                                // 00000000649C: 04586334
	v_mov_b32_e32 v52, v49                                     // 0000000064A0: 7E680331
	v_mul_f32_e32 v51, s56, v49                                // 0000000064A4: 0A666238
	v_mul_f32_e32 v44, s56, v44                                // 0000000064A8: 0A585838
	v_exp_f32_e32 v44, v44                                     // 0000000064AC: 7E58412C
	v_add_f32_e64 v60, 0, -v51                                 // 0000000064B0: D101003C 40026680
	v_mov_b32_e32 v61, v60                                     // 0000000064B8: 7E7A033C
	s_nop 0                                                    // 0000000064BC: BF800000
	v_pk_fma_f32 v[84:85], v[84:85], s[56:57], v[60:61]        // 0000000064C0: D3B04054 1CF07154
	v_pk_fma_f32 v[86:87], v[86:87], s[56:57], v[60:61]        // 0000000064C8: D3B04056 1CF07156
	v_pk_fma_f32 v[88:89], v[88:89], s[56:57], v[60:61]        // 0000000064D0: D3B04058 1CF07158
	v_pk_fma_f32 v[90:91], v[90:91], s[56:57], v[60:61]        // 0000000064D8: D3B0405A 1CF0715A
	v_pk_fma_f32 v[92:93], v[92:93], s[56:57], v[60:61]        // 0000000064E0: D3B0405C 1CF0715C
	v_pk_fma_f32 v[94:95], v[94:95], s[56:57], v[60:61]        // 0000000064E8: D3B0405E 1CF0715E
	v_pk_fma_f32 v[96:97], v[96:97], s[56:57], v[60:61]        // 0000000064F0: D3B04060 1CF07160
	v_pk_fma_f32 v[98:99], v[98:99], s[56:57], v[60:61]        // 0000000064F8: D3B04062 1CF07162
	v_mfma_f32_32x32x8_bf16 v[148:163], a[174:175], v[74:75], v[148:163]// 000000006500: D3E00094 0E5295AE
	buffer_load_dword v179, v35, s[16:19], s35 offen           // 000000006508: E0501000 2304B323
	s_add_i32 s35, s44, s35                                    // 000000006510: 8123232C
	s_add_i32 s52, s52, s53                                    // 000000006514: 81343534
	s_addk_i32 s39, 0x20                                       // 000000006518: B7270020
	s_cmp_lt_i32 s39, s38                                      // 00000000651C: BF042627
	s_nop 0                                                    // 000000006520: BF800000
	v_mov_b32_e32 v45, v44                                     // 000000006524: 7E5A032C
	v_mul_f32_e32 v100, v44, v100                              // 000000006528: 0AC8C92C
	v_mul_f32_e32 v101, v44, v101                              // 00000000652C: 0ACACB2C
	v_pk_mul_f32 v[102:103], v[44:45], v[102:103]              // 000000006530: D3B14066 1802CD2C
	v_pk_mul_f32 v[104:105], v[44:45], v[104:105]              // 000000006538: D3B14068 1802D12C
	v_pk_mul_f32 v[106:107], v[44:45], v[106:107]              // 000000006540: D3B1406A 1802D52C
	v_pk_mul_f32 v[108:109], v[44:45], v[108:109]              // 000000006548: D3B1406C 1802D92C
	v_pk_mul_f32 v[110:111], v[44:45], v[110:111]              // 000000006550: D3B1406E 1802DD2C
	v_pk_mul_f32 v[112:113], v[44:45], v[112:113]              // 000000006558: D3B14070 1802E12C
	v_pk_mul_f32 v[114:115], v[44:45], v[114:115]              // 000000006560: D3B14072 1802E52C
	v_pk_mul_f32 v[116:117], v[44:45], v[116:117]              // 000000006568: D3B14074 1802E92C
	v_pk_mul_f32 v[118:119], v[44:45], v[118:119]              // 000000006570: D3B14076 1802ED2C
	v_pk_mul_f32 v[120:121], v[44:45], v[120:121]              // 000000006578: D3B14078 1802F12C
	v_pk_mul_f32 v[122:123], v[44:45], v[122:123]              // 000000006580: D3B1407A 1802F52C
	v_pk_mul_f32 v[124:125], v[44:45], v[124:125]              // 000000006588: D3B1407C 1802F92C
	v_pk_mul_f32 v[126:127], v[44:45], v[126:127]              // 000000006590: D3B1407E 1802FD2C
	v_pk_mul_f32 v[128:129], v[44:45], v[128:129]              // 000000006598: D3B14080 1803012C
	v_pk_mul_f32 v[130:131], v[44:45], v[130:131]              // 0000000065A0: D3B14082 1803052C
	v_pk_mul_f32 v[132:133], v[44:45], v[132:133]              // 0000000065A8: D3B14084 1803092C
	v_pk_mul_f32 v[134:135], v[44:45], v[134:135]              // 0000000065B0: D3B14086 18030D2C
	v_pk_mul_f32 v[136:137], v[44:45], v[136:137]              // 0000000065B8: D3B14088 1803112C
	v_pk_mul_f32 v[138:139], v[44:45], v[138:139]              // 0000000065C0: D3B1408A 1803152C
	v_pk_mul_f32 v[140:141], v[44:45], v[140:141]              // 0000000065C8: D3B1408C 1803192C
	v_pk_mul_f32 v[142:143], v[44:45], v[142:143]              // 0000000065D0: D3B1408E 18031D2C
	v_pk_mul_f32 v[144:145], v[44:45], v[144:145]              // 0000000065D8: D3B14090 1803212C
	v_pk_mul_f32 v[146:147], v[44:45], v[146:147]              // 0000000065E0: D3B14092 1803252C
	v_pk_mul_f32 v[148:149], v[44:45], v[148:149]              // 0000000065E8: D3B14094 1803292C
	v_pk_mul_f32 v[150:151], v[44:45], v[150:151]              // 0000000065F0: D3B14096 18032D2C
	v_pk_mul_f32 v[152:153], v[44:45], v[152:153]              // 0000000065F8: D3B14098 1803312C
	v_pk_mul_f32 v[154:155], v[44:45], v[154:155]              // 000000006600: D3B1409A 1803352C
	v_pk_mul_f32 v[156:157], v[44:45], v[156:157]              // 000000006608: D3B1409C 1803392C
	v_pk_mul_f32 v[158:159], v[44:45], v[158:159]              // 000000006610: D3B1409E 18033D2C
	v_pk_mul_f32 v[160:161], v[44:45], v[160:161]              // 000000006618: D3B140A0 1803412C
	v_pk_mul_f32 v[162:163], v[44:45], v[162:163]              // 000000006620: D3B140A2 1803452C
	s_cbranch_scc0 label_0F5A                                  // 000000006628: BF84028F
	s_waitcnt vmcnt(8) lgkmcnt(8)                              // 00000000662C: BF8C0878
	s_barrier                                                  // 000000006630: BF8A0000
	v_mfma_f32_32x32x8_bf16 v[68:83], a[48:49], a[0:1], 0      // 000000006634: D3E00044 1A020130
	v_mfma_f32_32x32x8_bf16 v[68:83], a[50:51], a[2:3], v[68:83]// 00000000663C: D3E00044 1D120532
	s_mov_b32 m0, s68                                          // 000000006644: BEFC0044
	buffer_load_dword v16, s[12:15], s60 offen lds             // 000000006648: E0511000 3C030010
	ds_write_b128 v38, v[180:183] offset:26112                 // 000000006650: D9BE6600 0000B426
	v_mfma_f32_32x32x8_bf16 v[68:83], a[52:53], a[4:5], v[68:83]// 000000006658: D3E00044 1D120934
	v_mfma_f32_32x32x8_bf16 v[68:83], a[54:55], a[6:7], v[68:83]// 000000006660: D3E00044 1D120D36
	s_add_u32 m0, 0x440, m0                                    // 000000006668: 807C7CFF 00000440
	buffer_load_dword v17, s[12:15], s60 offen lds             // 000000006670: E0511000 3C030011
	ds_write_b128 v38, v[184:187] offset:30272                 // 000000006678: D9BE7640 0000B826
	v_mfma_f32_32x32x8_bf16 v[68:83], a[56:57], a[8:9], v[68:83]// 000000006680: D3E00044 1D121138
	v_mfma_f32_32x32x8_bf16 v[68:83], a[58:59], a[10:11], v[68:83]// 000000006688: D3E00044 1D12153A
	s_add_u32 m0, 0x440, m0                                    // 000000006690: 807C7CFF 00000440
	buffer_load_dword v18, s[12:15], s60 offen lds             // 000000006698: E0511000 3C030012
	ds_read_b128 a[96:99], v36 offset:13056                    // 0000000066A0: DBFE3300 60000024
	ds_read_b128 a[100:103], v36 offset:13088                  // 0000000066A8: DBFE3320 64000024
	v_mfma_f32_32x32x8_bf16 v[68:83], a[60:61], a[12:13], v[68:83]// 0000000066B0: D3E00044 1D12193C
	v_mfma_f32_32x32x8_bf16 v[68:83], a[62:63], a[14:15], v[68:83]// 0000000066B8: D3E00044 1D121D3E
	s_add_u32 m0, 0x440, m0                                    // 0000000066C0: 807C7CFF 00000440
	buffer_load_dword v19, s[12:15], s60 offen lds             // 0000000066C8: E0511000 3C030013
	ds_read_b128 a[104:107], v36 offset:13120                  // 0000000066D0: DBFE3340 68000024
	ds_read_b128 a[108:111], v36 offset:13152                  // 0000000066D8: DBFE3360 6C000024
	v_mfma_f32_32x32x8_bf16 v[68:83], a[64:65], a[16:17], v[68:83]// 0000000066E0: D3E00044 1D122140
	v_mfma_f32_32x32x8_bf16 v[68:83], a[66:67], a[18:19], v[68:83]// 0000000066E8: D3E00044 1D122542
	s_add_u32 m0, 0x440, m0                                    // 0000000066F0: 807C7CFF 00000440
	buffer_load_dword v20, s[12:15], s60 offen lds             // 0000000066F8: E0511000 3C030014
	ds_read_b128 a[112:115], v36 offset:17408                  // 000000006700: DBFE4400 70000024
	ds_read_b128 a[116:119], v36 offset:17440                  // 000000006708: DBFE4420 74000024
	v_mfma_f32_32x32x8_bf16 v[68:83], a[68:69], a[20:21], v[68:83]// 000000006710: D3E00044 1D122944
	v_mfma_f32_32x32x8_bf16 v[68:83], a[70:71], a[22:23], v[68:83]// 000000006718: D3E00044 1D122D46
	s_add_u32 m0, 0x440, m0                                    // 000000006720: 807C7CFF 00000440
	buffer_load_dword v21, s[12:15], s60 offen lds             // 000000006728: E0511000 3C030015
	ds_read_b128 a[120:123], v36 offset:17472                  // 000000006730: DBFE4440 78000024
	ds_read_b128 a[124:127], v36 offset:17504                  // 000000006738: DBFE4460 7C000024
	v_mfma_f32_32x32x8_bf16 v[68:83], a[72:73], a[24:25], v[68:83]// 000000006740: D3E00044 1D123148
	v_mfma_f32_32x32x8_bf16 v[68:83], a[74:75], a[26:27], v[68:83]// 000000006748: D3E00044 1D12354A
	s_add_u32 m0, 0x440, m0                                    // 000000006750: 807C7CFF 00000440
	buffer_load_dword v22, s[12:15], s60 offen lds             // 000000006758: E0511000 3C030016
	ds_read_b128 a[128:131], v36 offset:21760                  // 000000006760: DBFE5500 80000024
	ds_read_b128 a[132:135], v36 offset:21792                  // 000000006768: DBFE5520 84000024
	v_mfma_f32_32x32x8_bf16 v[68:83], a[76:77], a[28:29], v[68:83]// 000000006770: D3E00044 1D12394C
	v_mfma_f32_32x32x8_bf16 v[68:83], a[78:79], a[30:31], v[68:83]// 000000006778: D3E00044 1D123D4E
	s_add_u32 m0, 0x440, m0                                    // 000000006780: 807C7CFF 00000440
	buffer_load_dword v23, s[12:15], s60 offen lds             // 000000006788: E0511000 3C030017
	ds_read_b128 a[136:139], v36 offset:21824                  // 000000006790: DBFE5540 88000024
	ds_read_b128 a[140:143], v36 offset:21856                  // 000000006798: DBFE5560 8C000024
	v_mfma_f32_32x32x8_bf16 v[68:83], a[80:81], a[32:33], v[68:83]// 0000000067A0: D3E00044 1D124150
	v_mfma_f32_32x32x8_bf16 v[68:83], a[82:83], a[34:35], v[68:83]// 0000000067A8: D3E00044 1D124552
	s_add_u32 m0, 0x440, m0                                    // 0000000067B0: 807C7CFF 00000440
	buffer_load_dword v24, s[12:15], s60 offen lds             // 0000000067B8: E0511000 3C030018
	v_mfma_f32_32x32x8_bf16 v[68:83], a[84:85], a[36:37], v[68:83]// 0000000067C0: D3E00044 1D124954
	v_mfma_f32_32x32x8_bf16 v[68:83], a[86:87], a[38:39], v[68:83]// 0000000067C8: D3E00044 1D124D56
	s_add_u32 m0, 0x440, m0                                    // 0000000067D0: 807C7CFF 00000440
	buffer_load_dword v25, s[12:15], s60 offen lds             // 0000000067D8: E0511000 3C030019
	v_mfma_f32_32x32x8_bf16 v[68:83], a[88:89], a[40:41], v[68:83]// 0000000067E0: D3E00044 1D125158
	v_mfma_f32_32x32x8_bf16 v[68:83], a[90:91], a[42:43], v[68:83]// 0000000067E8: D3E00044 1D12555A
	s_add_u32 m0, 0x440, m0                                    // 0000000067F0: 807C7CFF 00000440
	buffer_load_dword v26, s[12:15], s60 offen lds             // 0000000067F8: E0511000 3C03001A
	v_mfma_f32_32x32x8_bf16 v[68:83], a[92:93], a[44:45], v[68:83]// 000000006800: D3E00044 1D12595C
	s_nop 0                                                    // 000000006808: BF800000
	v_exp_f32_e32 v84, v84                                     // 00000000680C: 7EA84154
	v_exp_f32_e32 v85, v85                                     // 000000006810: 7EAA4155
	v_exp_f32_e32 v86, v86                                     // 000000006814: 7EAC4156
	v_exp_f32_e32 v87, v87                                     // 000000006818: 7EAE4157
	v_exp_f32_e32 v88, v88                                     // 00000000681C: 7EB04158
	v_exp_f32_e32 v89, v89                                     // 000000006820: 7EB24159
	v_exp_f32_e32 v90, v90                                     // 000000006824: 7EB4415A
	v_exp_f32_e32 v91, v91                                     // 000000006828: 7EB6415B
	v_exp_f32_e32 v92, v92                                     // 00000000682C: 7EB8415C
	v_exp_f32_e32 v93, v93                                     // 000000006830: 7EBA415D
	v_exp_f32_e32 v94, v94                                     // 000000006834: 7EBC415E
	v_exp_f32_e32 v95, v95                                     // 000000006838: 7EBE415F
	v_exp_f32_e32 v96, v96                                     // 00000000683C: 7EC04160
	v_exp_f32_e32 v97, v97                                     // 000000006840: 7EC24161
	v_exp_f32_e32 v98, v98                                     // 000000006844: 7EC44162
	v_exp_f32_e32 v99, v99                                     // 000000006848: 7EC64163
	v_mul_f32_e32 v46, v44, v46                                // 00000000684C: 0A5C5D2C
	v_pk_add_f32 v[62:63], v[84:85], v[86:87]                  // 000000006850: D3B2403E 1802AD54
	v_pk_add_f32 v[62:63], v[88:89], v[62:63]                  // 000000006858: D3B2403E 18027D58
	v_pk_add_f32 v[62:63], v[90:91], v[62:63]                  // 000000006860: D3B2403E 18027D5A
	v_pk_add_f32 v[62:63], v[92:93], v[62:63]                  // 000000006868: D3B2403E 18027D5C
	v_pk_add_f32 v[62:63], v[94:95], v[62:63]                  // 000000006870: D3B2403E 18027D5E
	v_pk_add_f32 v[62:63], v[96:97], v[62:63]                  // 000000006878: D3B2403E 18027D60
	v_pk_add_f32 v[62:63], v[98:99], v[62:63]                  // 000000006880: D3B2403E 18027D62
	v_add_f32_e32 v62, v62, v63                                // 000000006888: 027C7F3E
	v_add_f32_e32 v46, v62, v46                                // 00000000688C: 025C5D3E
	v_cmp_u_f32_e64 s[70:71], v84, v84                         // 000000006890: D0480046 0002A954
	v_bfe_u32 v64, v84, 16, 1                                  // 000000006898: D1C80040 02052154
	v_add3_u32 v64, v84, v64, v67                              // 0000000068A0: D1FF0040 050E8154
	v_cndmask_b32_e64 v40, v64, v66, s[70:71]                  // 0000000068A8: D1000028 011A8540
	v_lshrrev_b32_e32 v40, 16, v40                             // 0000000068B0: 20505090
	v_cmp_u_f32_e64 s[70:71], v85, v85                         // 0000000068B4: D0480046 0002AB55
	v_bfe_u32 v64, v85, 16, 1                                  // 0000000068BC: D1C80040 02052155
	v_add3_u32 v64, v85, v64, v67                              // 0000000068C4: D1FF0040 050E8155
	v_cndmask_b32_e64 v41, v64, v66, s[70:71]                  // 0000000068CC: D1000029 011A8540
	v_and_or_b32 v84, v41, v65, v40                            // 0000000068D4: D2010054 04A28329
	v_cmp_u_f32_e64 s[70:71], v86, v86                         // 0000000068DC: D0480046 0002AD56
	v_bfe_u32 v64, v86, 16, 1                                  // 0000000068E4: D1C80040 02052156
	v_add3_u32 v64, v86, v64, v67                              // 0000000068EC: D1FF0040 050E8156
	v_cndmask_b32_e64 v40, v64, v66, s[70:71]                  // 0000000068F4: D1000028 011A8540
	v_lshrrev_b32_e32 v40, 16, v40                             // 0000000068FC: 20505090
	v_cmp_u_f32_e64 s[70:71], v87, v87                         // 000000006900: D0480046 0002AF57
	v_bfe_u32 v64, v87, 16, 1                                  // 000000006908: D1C80040 02052157
	v_add3_u32 v64, v87, v64, v67                              // 000000006910: D1FF0040 050E8157
	v_cndmask_b32_e64 v41, v64, v66, s[70:71]                  // 000000006918: D1000029 011A8540
	v_and_or_b32 v85, v41, v65, v40                            // 000000006920: D2010055 04A28329
	v_cmp_u_f32_e64 s[70:71], v88, v88                         // 000000006928: D0480046 0002B158
	v_bfe_u32 v64, v88, 16, 1                                  // 000000006930: D1C80040 02052158
	v_add3_u32 v64, v88, v64, v67                              // 000000006938: D1FF0040 050E8158
	v_cndmask_b32_e64 v40, v64, v66, s[70:71]                  // 000000006940: D1000028 011A8540
	v_lshrrev_b32_e32 v40, 16, v40                             // 000000006948: 20505090
	v_cmp_u_f32_e64 s[70:71], v89, v89                         // 00000000694C: D0480046 0002B359
	v_bfe_u32 v64, v89, 16, 1                                  // 000000006954: D1C80040 02052159
	v_add3_u32 v64, v89, v64, v67                              // 00000000695C: D1FF0040 050E8159
	v_cndmask_b32_e64 v41, v64, v66, s[70:71]                  // 000000006964: D1000029 011A8540
	v_and_or_b32 v86, v41, v65, v40                            // 00000000696C: D2010056 04A28329
	v_cmp_u_f32_e64 s[70:71], v90, v90                         // 000000006974: D0480046 0002B55A
	v_bfe_u32 v64, v90, 16, 1                                  // 00000000697C: D1C80040 0205215A
	v_add3_u32 v64, v90, v64, v67                              // 000000006984: D1FF0040 050E815A
	v_cndmask_b32_e64 v40, v64, v66, s[70:71]                  // 00000000698C: D1000028 011A8540
	v_lshrrev_b32_e32 v40, 16, v40                             // 000000006994: 20505090
	v_cmp_u_f32_e64 s[70:71], v91, v91                         // 000000006998: D0480046 0002B75B
	v_bfe_u32 v64, v91, 16, 1                                  // 0000000069A0: D1C80040 0205215B
	v_add3_u32 v64, v91, v64, v67                              // 0000000069A8: D1FF0040 050E815B
	v_cndmask_b32_e64 v41, v64, v66, s[70:71]                  // 0000000069B0: D1000029 011A8540
	v_and_or_b32 v87, v41, v65, v40                            // 0000000069B8: D2010057 04A28329
	v_cmp_u_f32_e64 s[70:71], v92, v92                         // 0000000069C0: D0480046 0002B95C
	v_bfe_u32 v64, v92, 16, 1                                  // 0000000069C8: D1C80040 0205215C
	v_add3_u32 v64, v92, v64, v67                              // 0000000069D0: D1FF0040 050E815C
	v_cndmask_b32_e64 v40, v64, v66, s[70:71]                  // 0000000069D8: D1000028 011A8540
	v_lshrrev_b32_e32 v40, 16, v40                             // 0000000069E0: 20505090
	v_cmp_u_f32_e64 s[70:71], v93, v93                         // 0000000069E4: D0480046 0002BB5D
	v_bfe_u32 v64, v93, 16, 1                                  // 0000000069EC: D1C80040 0205215D
	v_add3_u32 v64, v93, v64, v67                              // 0000000069F4: D1FF0040 050E815D
	v_cndmask_b32_e64 v41, v64, v66, s[70:71]                  // 0000000069FC: D1000029 011A8540
	v_and_or_b32 v88, v41, v65, v40                            // 000000006A04: D2010058 04A28329
	v_cmp_u_f32_e64 s[70:71], v94, v94                         // 000000006A0C: D0480046 0002BD5E
	v_bfe_u32 v64, v94, 16, 1                                  // 000000006A14: D1C80040 0205215E
	v_add3_u32 v64, v94, v64, v67                              // 000000006A1C: D1FF0040 050E815E
	v_cndmask_b32_e64 v40, v64, v66, s[70:71]                  // 000000006A24: D1000028 011A8540
	v_lshrrev_b32_e32 v40, 16, v40                             // 000000006A2C: 20505090
	v_cmp_u_f32_e64 s[70:71], v95, v95                         // 000000006A30: D0480046 0002BF5F
	v_bfe_u32 v64, v95, 16, 1                                  // 000000006A38: D1C80040 0205215F
	v_add3_u32 v64, v95, v64, v67                              // 000000006A40: D1FF0040 050E815F
	v_cndmask_b32_e64 v41, v64, v66, s[70:71]                  // 000000006A48: D1000029 011A8540
	v_and_or_b32 v89, v41, v65, v40                            // 000000006A50: D2010059 04A28329
	v_cmp_u_f32_e64 s[70:71], v96, v96                         // 000000006A58: D0480046 0002C160
	v_bfe_u32 v64, v96, 16, 1                                  // 000000006A60: D1C80040 02052160
	v_add3_u32 v64, v96, v64, v67                              // 000000006A68: D1FF0040 050E8160
	v_cndmask_b32_e64 v40, v64, v66, s[70:71]                  // 000000006A70: D1000028 011A8540
	v_lshrrev_b32_e32 v40, 16, v40                             // 000000006A78: 20505090
	v_cmp_u_f32_e64 s[70:71], v97, v97                         // 000000006A7C: D0480046 0002C361
	v_bfe_u32 v64, v97, 16, 1                                  // 000000006A84: D1C80040 02052161
	v_add3_u32 v64, v97, v64, v67                              // 000000006A8C: D1FF0040 050E8161
	v_cndmask_b32_e64 v41, v64, v66, s[70:71]                  // 000000006A94: D1000029 011A8540
	v_and_or_b32 v90, v41, v65, v40                            // 000000006A9C: D201005A 04A28329
	v_cmp_u_f32_e64 s[70:71], v98, v98                         // 000000006AA4: D0480046 0002C562
	v_bfe_u32 v64, v98, 16, 1                                  // 000000006AAC: D1C80040 02052162
	v_add3_u32 v64, v98, v64, v67                              // 000000006AB4: D1FF0040 050E8162
	v_cndmask_b32_e64 v40, v64, v66, s[70:71]                  // 000000006ABC: D1000028 011A8540
	v_lshrrev_b32_e32 v40, 16, v40                             // 000000006AC4: 20505090
	v_cmp_u_f32_e64 s[70:71], v99, v99                         // 000000006AC8: D0480046 0002C763
	v_bfe_u32 v64, v99, 16, 1                                  // 000000006AD0: D1C80040 02052163
	v_add3_u32 v64, v99, v64, v67                              // 000000006AD8: D1FF0040 050E8163
	v_cndmask_b32_e64 v41, v64, v66, s[70:71]                  // 000000006AE0: D1000029 011A8540
	v_and_or_b32 v91, v41, v65, v40                            // 000000006AE8: D201005B 04A28329
	v_mfma_f32_32x32x8_bf16 v[68:83], a[94:95], a[46:47], v[68:83]// 000000006AF0: D3E00044 1D125D5E
	s_add_u32 m0, 0x440, m0                                    // 000000006AF8: 807C7CFF 00000440
	buffer_load_dword v27, s[12:15], s60 offen lds             // 000000006B00: E0511000 3C03001B
	s_add_i32 s60, s43, s60                                    // 000000006B08: 813C3C2B
	s_cmp_lt_i32 s52, s51                                      // 000000006B0C: BF043334
	s_cbranch_scc1 label_0E92                                  // 000000006B10: BF85008D
	s_nop 0                                                    // 000000006B14: BF800000
	s_sub_i32 s40, s51, s52                                    // 000000006B18: 81A83433
	s_sub_i32 s41, s7, s30                                     // 000000006B1C: 81A91E07
	s_and_b32 s41, s41, 31                                     // 000000006B20: 86299F29
	s_add_i32 s40, s40, s41                                    // 000000006B24: 81282928
	v_add_i32 v40, v53, s40                                    // 000000006B28: D29C0028 00005135
	v_cmp_lt_i32_e64 s[72:73], v40, 0                          // 000000006B30: D0C10048 00010128
	v_cmp_lt_i32_e64 s[74:75], v40, 1                          // 000000006B38: D0C1004A 00010328
	v_cndmask_b32_e64 v68, v68, v55, s[72:73]                  // 000000006B40: D1000044 01226F44
	v_cndmask_b32_e64 v69, v69, v55, s[74:75]                  // 000000006B48: D1000045 012A6F45
	v_cmp_lt_i32_e64 s[72:73], v40, 2                          // 000000006B50: D0C10048 00010528
	v_cmp_lt_i32_e64 s[74:75], v40, 3                          // 000000006B58: D0C1004A 00010728
	v_cndmask_b32_e64 v70, v70, v55, s[72:73]                  // 000000006B60: D1000046 01226F46
	v_cndmask_b32_e64 v71, v71, v55, s[74:75]                  // 000000006B68: D1000047 012A6F47
	v_cmp_lt_i32_e64 s[72:73], v40, 8                          // 000000006B70: D0C10048 00011128
	v_cmp_lt_i32_e64 s[74:75], v40, 9                          // 000000006B78: D0C1004A 00011328
	v_cndmask_b32_e64 v72, v72, v55, s[72:73]                  // 000000006B80: D1000048 01226F48
	v_cndmask_b32_e64 v73, v73, v55, s[74:75]                  // 000000006B88: D1000049 012A6F49
	v_cmp_lt_i32_e64 s[72:73], v40, 10                         // 000000006B90: D0C10048 00011528
	v_cmp_lt_i32_e64 s[74:75], v40, 11                         // 000000006B98: D0C1004A 00011728
	v_cndmask_b32_e64 v74, v74, v55, s[72:73]                  // 000000006BA0: D100004A 01226F4A
	v_cndmask_b32_e64 v75, v75, v55, s[74:75]                  // 000000006BA8: D100004B 012A6F4B
	v_cmp_lt_i32_e64 s[72:73], v40, 16                         // 000000006BB0: D0C10048 00012128
	v_cmp_lt_i32_e64 s[74:75], v40, 17                         // 000000006BB8: D0C1004A 00012328
	v_cndmask_b32_e64 v76, v76, v55, s[72:73]                  // 000000006BC0: D100004C 01226F4C
	v_cndmask_b32_e64 v77, v77, v55, s[74:75]                  // 000000006BC8: D100004D 012A6F4D
	v_cmp_lt_i32_e64 s[72:73], v40, 18                         // 000000006BD0: D0C10048 00012528
	v_cmp_lt_i32_e64 s[74:75], v40, 19                         // 000000006BD8: D0C1004A 00012728
	v_cndmask_b32_e64 v78, v78, v55, s[72:73]                  // 000000006BE0: D100004E 01226F4E
	v_cndmask_b32_e64 v79, v79, v55, s[74:75]                  // 000000006BE8: D100004F 012A6F4F
	v_cmp_lt_i32_e64 s[72:73], v40, 24                         // 000000006BF0: D0C10048 00013128
	v_cmp_lt_i32_e64 s[74:75], v40, 25                         // 000000006BF8: D0C1004A 00013328
	v_cndmask_b32_e64 v80, v80, v55, s[72:73]                  // 000000006C00: D1000050 01226F50
	v_cndmask_b32_e64 v81, v81, v55, s[74:75]                  // 000000006C08: D1000051 012A6F51
	v_cmp_lt_i32_e64 s[72:73], v40, 26                         // 000000006C10: D0C10048 00013528
	v_cmp_lt_i32_e64 s[74:75], v40, 27                         // 000000006C18: D0C1004A 00013728
	v_cndmask_b32_e64 v82, v82, v55, s[72:73]                  // 000000006C20: D1000052 01226F52
	v_cndmask_b32_e64 v83, v83, v55, s[74:75]                  // 000000006C28: D1000053 012A6F53
	s_nop 0                                                    // 000000006C30: BF800000
	s_cmp_lt_i32 s52, s54                                      // 000000006C34: BF043634
	s_cbranch_scc1 label_0E92                                  // 000000006C38: BF850043
	s_sub_i32 s40, s7, s52                                     // 000000006C3C: 81A83407
	v_sub_i32 v40, s40, v54                                    // 000000006C40: D29D0028 00026C28
	v_cmp_lt_i32_e64 s[72:73], 0, v40                          // 000000006C48: D0C10048 00025080
	v_cmp_lt_i32_e64 s[74:75], 1, v40                          // 000000006C50: D0C1004A 00025081
	v_cndmask_b32_e64 v68, v55, v68, s[72:73]                  // 000000006C58: D1000044 01228937
	v_cndmask_b32_e64 v69, v55, v69, s[74:75]                  // 000000006C60: D1000045 012A8B37
	v_cmp_lt_i32_e64 s[72:73], 2, v40                          // 000000006C68: D0C10048 00025082
	v_cmp_lt_i32_e64 s[74:75], 3, v40                          // 000000006C70: D0C1004A 00025083
	v_cndmask_b32_e64 v70, v55, v70, s[72:73]                  // 000000006C78: D1000046 01228D37
	v_cndmask_b32_e64 v71, v55, v71, s[74:75]                  // 000000006C80: D1000047 012A8F37
	v_cmp_lt_i32_e64 s[72:73], 8, v40                          // 000000006C88: D0C10048 00025088
	v_cmp_lt_i32_e64 s[74:75], 9, v40                          // 000000006C90: D0C1004A 00025089
	v_cndmask_b32_e64 v72, v55, v72, s[72:73]                  // 000000006C98: D1000048 01229137
	v_cndmask_b32_e64 v73, v55, v73, s[74:75]                  // 000000006CA0: D1000049 012A9337
	v_cmp_lt_i32_e64 s[72:73], 10, v40                         // 000000006CA8: D0C10048 0002508A
	v_cmp_lt_i32_e64 s[74:75], 11, v40                         // 000000006CB0: D0C1004A 0002508B
	v_cndmask_b32_e64 v74, v55, v74, s[72:73]                  // 000000006CB8: D100004A 01229537
	v_cndmask_b32_e64 v75, v55, v75, s[74:75]                  // 000000006CC0: D100004B 012A9737
	v_cmp_lt_i32_e64 s[72:73], 16, v40                         // 000000006CC8: D0C10048 00025090
	v_cmp_lt_i32_e64 s[74:75], 17, v40                         // 000000006CD0: D0C1004A 00025091
	v_cndmask_b32_e64 v76, v55, v76, s[72:73]                  // 000000006CD8: D100004C 01229937
	v_cndmask_b32_e64 v77, v55, v77, s[74:75]                  // 000000006CE0: D100004D 012A9B37
	v_cmp_lt_i32_e64 s[72:73], 18, v40                         // 000000006CE8: D0C10048 00025092
	v_cmp_lt_i32_e64 s[74:75], 19, v40                         // 000000006CF0: D0C1004A 00025093
	v_cndmask_b32_e64 v78, v55, v78, s[72:73]                  // 000000006CF8: D100004E 01229D37
	v_cndmask_b32_e64 v79, v55, v79, s[74:75]                  // 000000006D00: D100004F 012A9F37
	v_cmp_lt_i32_e64 s[72:73], 24, v40                         // 000000006D08: D0C10048 00025098
	v_cmp_lt_i32_e64 s[74:75], 25, v40                         // 000000006D10: D0C1004A 00025099
	v_cndmask_b32_e64 v80, v55, v80, s[72:73]                  // 000000006D18: D1000050 0122A137
	v_cndmask_b32_e64 v81, v55, v81, s[74:75]                  // 000000006D20: D1000051 012AA337
	v_cmp_lt_i32_e64 s[72:73], 26, v40                         // 000000006D28: D0C10048 0002509A
	v_cmp_lt_i32_e64 s[74:75], 27, v40                         // 000000006D30: D0C1004A 0002509B
	v_cndmask_b32_e64 v82, v55, v82, s[72:73]                  // 000000006D38: D1000052 0122A537
	v_cndmask_b32_e64 v83, v55, v83, s[74:75]                  // 000000006D40: D1000053 012AA737

0000000000006d48 <label_0E92>:
	s_waitcnt vmcnt(12) lgkmcnt(12)                            // 000000006D48: BF8C0C7C
	s_barrier                                                  // 000000006D4C: BF8A0000
	v_max3_f32 v49, v68, v69, v52                              // 000000006D50: D1D30031 04D28B44
	v_max3_f32 v49, v70, v71, v49                              // 000000006D58: D1D30031 04C68F46
	v_max3_f32 v49, v72, v73, v49                              // 000000006D60: D1D30031 04C69348
	v_max3_f32 v49, v74, v75, v49                              // 000000006D68: D1D30031 04C6974A
	v_max3_f32 v49, v76, v77, v49                              // 000000006D70: D1D30031 04C69B4C
	v_max3_f32 v49, v78, v79, v49                              // 000000006D78: D1D30031 04C69F4E
	v_max3_f32 v49, v80, v81, v49                              // 000000006D80: D1D30031 04C6A350
	v_max3_f32 v49, v82, v83, v49                              // 000000006D88: D1D30031 04C6A752
	v_mfma_f32_32x32x8_bf16 v[100:115], a[176:177], v[84:85], v[100:115]// 000000006D90: D3E00064 0D92A9B0
	ds_permute_b32 v48, v56, v49                               // 000000006D98: D87C0000 30003138
	v_mfma_f32_32x32x8_bf16 v[100:115], a[178:179], v[86:87], v[100:115]// 000000006DA0: D3E00064 0D92ADB2
	buffer_load_dword v164, v28, s[16:19], s35 offen           // 000000006DA8: E0501000 2304A41C
	v_mfma_f32_32x32x8_bf16 v[100:115], a[180:181], v[88:89], v[100:115]// 000000006DB0: D3E00064 0D92B1B4
	v_perm_b32 v188, v173, v172, s50                           // 000000006DB8: D1ED00BC 00CB59AD
	v_perm_b32 v192, v173, v172, s49                           // 000000006DC0: D1ED00C0 00C759AD
	v_perm_b32 v189, v175, v174, s50                           // 000000006DC8: D1ED00BD 00CB5DAF
	v_perm_b32 v193, v175, v174, s49                           // 000000006DD0: D1ED00C1 00C75DAF
	v_perm_b32 v190, v177, v176, s50                           // 000000006DD8: D1ED00BE 00CB61B1
	v_perm_b32 v194, v177, v176, s49                           // 000000006DE0: D1ED00C2 00C761B1
	v_perm_b32 v191, v179, v178, s50                           // 000000006DE8: D1ED00BF 00CB65B3
	v_perm_b32 v195, v179, v178, s49                           // 000000006DF0: D1ED00C3 00C765B3
	v_mfma_f32_32x32x8_bf16 v[100:115], a[182:183], v[90:91], v[100:115]// 000000006DF8: D3E00064 0D92B5B6
	buffer_load_dword v165, v29, s[16:19], s35 offen           // 000000006E00: E0501000 2304A51D
	v_mfma_f32_32x32x8_bf16 v[116:131], a[184:185], v[84:85], v[116:131]// 000000006E08: D3E00074 0DD2A9B8
	v_mfma_f32_32x32x8_bf16 v[116:131], a[186:187], v[86:87], v[116:131]// 000000006E10: D3E00074 0DD2ADBA
	buffer_load_dword v166, v30, s[16:19], s35 offen           // 000000006E18: E0501000 2304A61E
	s_waitcnt lgkmcnt(0)                                       // 000000006E20: BF8CC07F
	s_nop 0                                                    // 000000006E24: BF800000
	v_mfma_f32_32x32x8_bf16 v[116:131], a[188:189], v[88:89], v[116:131]// 000000006E28: D3E00074 0DD2B1BC
	v_mfma_f32_32x32x8_bf16 v[116:131], a[190:191], v[90:91], v[116:131]// 000000006E30: D3E00074 0DD2B5BE
	buffer_load_dword v167, v31, s[16:19], s35 offen           // 000000006E38: E0501000 2304A71F
	ds_read_b128 a[144:147], v37 offset:26112                  // 000000006E40: DBFE6600 90000025
	ds_read_b128 a[148:151], v37 offset:28160                  // 000000006E48: DBFE6E00 94000025
	ds_read_b128 a[152:155], v37 offset:26368                  // 000000006E50: DBFE6700 98000025
	ds_read_b128 a[156:159], v37 offset:28416                  // 000000006E58: DBFE6F00 9C000025
	v_mfma_f32_32x32x8_bf16 v[132:147], a[192:193], v[84:85], v[132:147]// 000000006E60: D3E00084 0E12A9C0
	v_mfma_f32_32x32x8_bf16 v[132:147], a[194:195], v[86:87], v[132:147]// 000000006E68: D3E00084 0E12ADC2
	buffer_load_dword v168, v32, s[16:19], s35 offen           // 000000006E70: E0501000 2304A820
	v_mfma_f32_32x32x8_bf16 v[132:147], a[196:197], v[88:89], v[132:147]// 000000006E78: D3E00084 0E12B1C4
	v_mfma_f32_32x32x8_bf16 v[132:147], a[198:199], v[90:91], v[132:147]// 000000006E80: D3E00084 0E12B5C6
	buffer_load_dword v169, v33, s[16:19], s35 offen           // 000000006E88: E0501000 2304A921
	ds_read_b128 a[160:163], v37 offset:26624                  // 000000006E90: DBFE6800 A0000025
	ds_read_b128 a[164:167], v37 offset:28672                  // 000000006E98: DBFE7000 A4000025
	ds_read_b128 a[168:171], v37 offset:26880                  // 000000006EA0: DBFE6900 A8000025
	ds_read_b128 a[172:175], v37 offset:28928                  // 000000006EA8: DBFE7100 AC000025
	v_mfma_f32_32x32x8_bf16 v[148:163], a[200:201], v[84:85], v[148:163]// 000000006EB0: D3E00094 0E52A9C8
	v_mfma_f32_32x32x8_bf16 v[148:163], a[202:203], v[86:87], v[148:163]// 000000006EB8: D3E00094 0E52ADCA
	buffer_load_dword v170, v34, s[16:19], s35 offen           // 000000006EC0: E0501000 2304AA22
	v_mfma_f32_32x32x8_bf16 v[148:163], a[204:205], v[88:89], v[148:163]// 000000006EC8: D3E00094 0E52B1CC
	v_max_f32_e32 v49, v48, v49                                // 000000006ED0: 16626330
	v_sub_f32_e32 v44, v52, v49                                // 000000006ED4: 04586334
	v_mov_b32_e32 v52, v49                                     // 000000006ED8: 7E680331
	v_mul_f32_e32 v51, s56, v49                                // 000000006EDC: 0A666238
	v_mul_f32_e32 v44, s56, v44                                // 000000006EE0: 0A585838
	v_exp_f32_e32 v44, v44                                     // 000000006EE4: 7E58412C
	v_add_f32_e64 v60, 0, -v51                                 // 000000006EE8: D101003C 40026680
	v_mov_b32_e32 v61, v60                                     // 000000006EF0: 7E7A033C
	s_nop 0                                                    // 000000006EF4: BF800000
	v_pk_fma_f32 v[68:69], v[68:69], s[56:57], v[60:61]        // 000000006EF8: D3B04044 1CF07144
	v_pk_fma_f32 v[70:71], v[70:71], s[56:57], v[60:61]        // 000000006F00: D3B04046 1CF07146
	v_pk_fma_f32 v[72:73], v[72:73], s[56:57], v[60:61]        // 000000006F08: D3B04048 1CF07148
	v_pk_fma_f32 v[74:75], v[74:75], s[56:57], v[60:61]        // 000000006F10: D3B0404A 1CF0714A
	v_pk_fma_f32 v[76:77], v[76:77], s[56:57], v[60:61]        // 000000006F18: D3B0404C 1CF0714C
	v_pk_fma_f32 v[78:79], v[78:79], s[56:57], v[60:61]        // 000000006F20: D3B0404E 1CF0714E
	v_pk_fma_f32 v[80:81], v[80:81], s[56:57], v[60:61]        // 000000006F28: D3B04050 1CF07150
	v_pk_fma_f32 v[82:83], v[82:83], s[56:57], v[60:61]        // 000000006F30: D3B04052 1CF07152
	v_mfma_f32_32x32x8_bf16 v[148:163], a[206:207], v[90:91], v[148:163]// 000000006F38: D3E00094 0E52B5CE
	buffer_load_dword v171, v35, s[16:19], s35 offen           // 000000006F40: E0501000 2304AB23
	s_add_i32 s35, s44, s35                                    // 000000006F48: 8123232C
	s_add_i32 s52, s52, s53                                    // 000000006F4C: 81343534
	s_addk_i32 s39, 0x20                                       // 000000006F50: B7270020
	s_cmp_lt_i32 s39, s38                                      // 000000006F54: BF042627
	s_nop 0                                                    // 000000006F58: BF800000
	v_mov_b32_e32 v45, v44                                     // 000000006F5C: 7E5A032C
	v_mul_f32_e32 v100, v44, v100                              // 000000006F60: 0AC8C92C
	v_mul_f32_e32 v101, v44, v101                              // 000000006F64: 0ACACB2C
	v_pk_mul_f32 v[102:103], v[44:45], v[102:103]              // 000000006F68: D3B14066 1802CD2C
	v_pk_mul_f32 v[104:105], v[44:45], v[104:105]              // 000000006F70: D3B14068 1802D12C
	v_pk_mul_f32 v[106:107], v[44:45], v[106:107]              // 000000006F78: D3B1406A 1802D52C
	v_pk_mul_f32 v[108:109], v[44:45], v[108:109]              // 000000006F80: D3B1406C 1802D92C
	v_pk_mul_f32 v[110:111], v[44:45], v[110:111]              // 000000006F88: D3B1406E 1802DD2C
	v_pk_mul_f32 v[112:113], v[44:45], v[112:113]              // 000000006F90: D3B14070 1802E12C
	v_pk_mul_f32 v[114:115], v[44:45], v[114:115]              // 000000006F98: D3B14072 1802E52C
	v_pk_mul_f32 v[116:117], v[44:45], v[116:117]              // 000000006FA0: D3B14074 1802E92C
	v_pk_mul_f32 v[118:119], v[44:45], v[118:119]              // 000000006FA8: D3B14076 1802ED2C
	v_pk_mul_f32 v[120:121], v[44:45], v[120:121]              // 000000006FB0: D3B14078 1802F12C
	v_pk_mul_f32 v[122:123], v[44:45], v[122:123]              // 000000006FB8: D3B1407A 1802F52C
	v_pk_mul_f32 v[124:125], v[44:45], v[124:125]              // 000000006FC0: D3B1407C 1802F92C
	v_pk_mul_f32 v[126:127], v[44:45], v[126:127]              // 000000006FC8: D3B1407E 1802FD2C
	v_pk_mul_f32 v[128:129], v[44:45], v[128:129]              // 000000006FD0: D3B14080 1803012C
	v_pk_mul_f32 v[130:131], v[44:45], v[130:131]              // 000000006FD8: D3B14082 1803052C
	v_pk_mul_f32 v[132:133], v[44:45], v[132:133]              // 000000006FE0: D3B14084 1803092C
	v_pk_mul_f32 v[134:135], v[44:45], v[134:135]              // 000000006FE8: D3B14086 18030D2C
	v_pk_mul_f32 v[136:137], v[44:45], v[136:137]              // 000000006FF0: D3B14088 1803112C
	v_pk_mul_f32 v[138:139], v[44:45], v[138:139]              // 000000006FF8: D3B1408A 1803152C
	v_pk_mul_f32 v[140:141], v[44:45], v[140:141]              // 000000007000: D3B1408C 1803192C
	v_pk_mul_f32 v[142:143], v[44:45], v[142:143]              // 000000007008: D3B1408E 18031D2C
	v_pk_mul_f32 v[144:145], v[44:45], v[144:145]              // 000000007010: D3B14090 1803212C
	v_pk_mul_f32 v[146:147], v[44:45], v[146:147]              // 000000007018: D3B14092 1803252C
	v_pk_mul_f32 v[148:149], v[44:45], v[148:149]              // 000000007020: D3B14094 1803292C
	v_pk_mul_f32 v[150:151], v[44:45], v[150:151]              // 000000007028: D3B14096 18032D2C
	v_pk_mul_f32 v[152:153], v[44:45], v[152:153]              // 000000007030: D3B14098 1803312C
	v_pk_mul_f32 v[154:155], v[44:45], v[154:155]              // 000000007038: D3B1409A 1803352C
	v_pk_mul_f32 v[156:157], v[44:45], v[156:157]              // 000000007040: D3B1409C 1803392C
	v_pk_mul_f32 v[158:159], v[44:45], v[158:159]              // 000000007048: D3B1409E 18033D2C
	v_pk_mul_f32 v[160:161], v[44:45], v[160:161]              // 000000007050: D3B140A0 1803412C
	v_pk_mul_f32 v[162:163], v[44:45], v[162:163]              // 000000007058: D3B140A2 1803452C
	s_cbranch_scc0 label_0F5A                                  // 000000007060: BF840001
	s_branch label_0A3D                                        // 000000007064: BF82FAE3

0000000000007068 <label_0F5A>:
	s_add_u32 s40, s38, 31                                     // 000000007068: 80289F26
	s_lshr_b32 s40, s40, 5                                     // 00000000706C: 8F288528
	s_and_b32 s40, 1, s40                                      // 000000007070: 86282881
	s_cmp_lt_i32 s40, 1                                        // 000000007074: BF048128
	s_cbranch_scc0 label_103D                                  // 000000007078: BF8400DE
	s_nop 0                                                    // 00000000707C: BF800000
	s_nop 0                                                    // 000000007080: BF800000
	v_exp_f32_e32 v84, v84                                     // 000000007084: 7EA84154
	v_exp_f32_e32 v85, v85                                     // 000000007088: 7EAA4155
	v_exp_f32_e32 v86, v86                                     // 00000000708C: 7EAC4156
	v_exp_f32_e32 v87, v87                                     // 000000007090: 7EAE4157
	v_exp_f32_e32 v88, v88                                     // 000000007094: 7EB04158
	v_exp_f32_e32 v89, v89                                     // 000000007098: 7EB24159
	v_exp_f32_e32 v90, v90                                     // 00000000709C: 7EB4415A
	v_exp_f32_e32 v91, v91                                     // 0000000070A0: 7EB6415B
	v_exp_f32_e32 v92, v92                                     // 0000000070A4: 7EB8415C
	v_exp_f32_e32 v93, v93                                     // 0000000070A8: 7EBA415D
	v_exp_f32_e32 v94, v94                                     // 0000000070AC: 7EBC415E
	v_exp_f32_e32 v95, v95                                     // 0000000070B0: 7EBE415F
	v_exp_f32_e32 v96, v96                                     // 0000000070B4: 7EC04160
	v_exp_f32_e32 v97, v97                                     // 0000000070B8: 7EC24161
	v_exp_f32_e32 v98, v98                                     // 0000000070BC: 7EC44162
	v_exp_f32_e32 v99, v99                                     // 0000000070C0: 7EC64163
	v_mul_f32_e32 v46, v44, v46                                // 0000000070C4: 0A5C5D2C
	v_pk_add_f32 v[62:63], v[84:85], v[86:87]                  // 0000000070C8: D3B2403E 1802AD54
	v_pk_add_f32 v[62:63], v[88:89], v[62:63]                  // 0000000070D0: D3B2403E 18027D58
	v_pk_add_f32 v[62:63], v[90:91], v[62:63]                  // 0000000070D8: D3B2403E 18027D5A
	v_pk_add_f32 v[62:63], v[92:93], v[62:63]                  // 0000000070E0: D3B2403E 18027D5C
	v_pk_add_f32 v[62:63], v[94:95], v[62:63]                  // 0000000070E8: D3B2403E 18027D5E
	v_pk_add_f32 v[62:63], v[96:97], v[62:63]                  // 0000000070F0: D3B2403E 18027D60
	v_pk_add_f32 v[62:63], v[98:99], v[62:63]                  // 0000000070F8: D3B2403E 18027D62
	v_add_f32_e32 v62, v62, v63                                // 000000007100: 027C7F3E
	v_add_f32_e32 v46, v62, v46                                // 000000007104: 025C5D3E
	v_cmp_u_f32_e64 s[70:71], v84, v84                         // 000000007108: D0480046 0002A954
	v_bfe_u32 v64, v84, 16, 1                                  // 000000007110: D1C80040 02052154
	v_add3_u32 v64, v84, v64, v67                              // 000000007118: D1FF0040 050E8154
	v_cndmask_b32_e64 v40, v64, v66, s[70:71]                  // 000000007120: D1000028 011A8540
	v_lshrrev_b32_e32 v40, 16, v40                             // 000000007128: 20505090
	v_cmp_u_f32_e64 s[70:71], v85, v85                         // 00000000712C: D0480046 0002AB55
	v_bfe_u32 v64, v85, 16, 1                                  // 000000007134: D1C80040 02052155
	v_add3_u32 v64, v85, v64, v67                              // 00000000713C: D1FF0040 050E8155
	v_cndmask_b32_e64 v41, v64, v66, s[70:71]                  // 000000007144: D1000029 011A8540
	v_and_or_b32 v84, v41, v65, v40                            // 00000000714C: D2010054 04A28329
	v_cmp_u_f32_e64 s[70:71], v86, v86                         // 000000007154: D0480046 0002AD56
	v_bfe_u32 v64, v86, 16, 1                                  // 00000000715C: D1C80040 02052156
	v_add3_u32 v64, v86, v64, v67                              // 000000007164: D1FF0040 050E8156
	v_cndmask_b32_e64 v40, v64, v66, s[70:71]                  // 00000000716C: D1000028 011A8540
	v_lshrrev_b32_e32 v40, 16, v40                             // 000000007174: 20505090
	v_cmp_u_f32_e64 s[70:71], v87, v87                         // 000000007178: D0480046 0002AF57
	v_bfe_u32 v64, v87, 16, 1                                  // 000000007180: D1C80040 02052157
	v_add3_u32 v64, v87, v64, v67                              // 000000007188: D1FF0040 050E8157
	v_cndmask_b32_e64 v41, v64, v66, s[70:71]                  // 000000007190: D1000029 011A8540
	v_and_or_b32 v85, v41, v65, v40                            // 000000007198: D2010055 04A28329
	v_cmp_u_f32_e64 s[70:71], v88, v88                         // 0000000071A0: D0480046 0002B158
	v_bfe_u32 v64, v88, 16, 1                                  // 0000000071A8: D1C80040 02052158
	v_add3_u32 v64, v88, v64, v67                              // 0000000071B0: D1FF0040 050E8158
	v_cndmask_b32_e64 v40, v64, v66, s[70:71]                  // 0000000071B8: D1000028 011A8540
	v_lshrrev_b32_e32 v40, 16, v40                             // 0000000071C0: 20505090
	v_cmp_u_f32_e64 s[70:71], v89, v89                         // 0000000071C4: D0480046 0002B359
	v_bfe_u32 v64, v89, 16, 1                                  // 0000000071CC: D1C80040 02052159
	v_add3_u32 v64, v89, v64, v67                              // 0000000071D4: D1FF0040 050E8159
	v_cndmask_b32_e64 v41, v64, v66, s[70:71]                  // 0000000071DC: D1000029 011A8540
	v_and_or_b32 v86, v41, v65, v40                            // 0000000071E4: D2010056 04A28329
	v_cmp_u_f32_e64 s[70:71], v90, v90                         // 0000000071EC: D0480046 0002B55A
	v_bfe_u32 v64, v90, 16, 1                                  // 0000000071F4: D1C80040 0205215A
	v_add3_u32 v64, v90, v64, v67                              // 0000000071FC: D1FF0040 050E815A
	v_cndmask_b32_e64 v40, v64, v66, s[70:71]                  // 000000007204: D1000028 011A8540
	v_lshrrev_b32_e32 v40, 16, v40                             // 00000000720C: 20505090
	v_cmp_u_f32_e64 s[70:71], v91, v91                         // 000000007210: D0480046 0002B75B
	v_bfe_u32 v64, v91, 16, 1                                  // 000000007218: D1C80040 0205215B
	v_add3_u32 v64, v91, v64, v67                              // 000000007220: D1FF0040 050E815B
	v_cndmask_b32_e64 v41, v64, v66, s[70:71]                  // 000000007228: D1000029 011A8540
	v_and_or_b32 v87, v41, v65, v40                            // 000000007230: D2010057 04A28329
	v_cmp_u_f32_e64 s[70:71], v92, v92                         // 000000007238: D0480046 0002B95C
	v_bfe_u32 v64, v92, 16, 1                                  // 000000007240: D1C80040 0205215C
	v_add3_u32 v64, v92, v64, v67                              // 000000007248: D1FF0040 050E815C
	v_cndmask_b32_e64 v40, v64, v66, s[70:71]                  // 000000007250: D1000028 011A8540
	v_lshrrev_b32_e32 v40, 16, v40                             // 000000007258: 20505090
	v_cmp_u_f32_e64 s[70:71], v93, v93                         // 00000000725C: D0480046 0002BB5D
	v_bfe_u32 v64, v93, 16, 1                                  // 000000007264: D1C80040 0205215D
	v_add3_u32 v64, v93, v64, v67                              // 00000000726C: D1FF0040 050E815D
	v_cndmask_b32_e64 v41, v64, v66, s[70:71]                  // 000000007274: D1000029 011A8540
	v_and_or_b32 v88, v41, v65, v40                            // 00000000727C: D2010058 04A28329
	v_cmp_u_f32_e64 s[70:71], v94, v94                         // 000000007284: D0480046 0002BD5E
	v_bfe_u32 v64, v94, 16, 1                                  // 00000000728C: D1C80040 0205215E
	v_add3_u32 v64, v94, v64, v67                              // 000000007294: D1FF0040 050E815E
	v_cndmask_b32_e64 v40, v64, v66, s[70:71]                  // 00000000729C: D1000028 011A8540
	v_lshrrev_b32_e32 v40, 16, v40                             // 0000000072A4: 20505090
	v_cmp_u_f32_e64 s[70:71], v95, v95                         // 0000000072A8: D0480046 0002BF5F
	v_bfe_u32 v64, v95, 16, 1                                  // 0000000072B0: D1C80040 0205215F
	v_add3_u32 v64, v95, v64, v67                              // 0000000072B8: D1FF0040 050E815F
	v_cndmask_b32_e64 v41, v64, v66, s[70:71]                  // 0000000072C0: D1000029 011A8540
	v_and_or_b32 v89, v41, v65, v40                            // 0000000072C8: D2010059 04A28329
	v_cmp_u_f32_e64 s[70:71], v96, v96                         // 0000000072D0: D0480046 0002C160
	v_bfe_u32 v64, v96, 16, 1                                  // 0000000072D8: D1C80040 02052160
	v_add3_u32 v64, v96, v64, v67                              // 0000000072E0: D1FF0040 050E8160
	v_cndmask_b32_e64 v40, v64, v66, s[70:71]                  // 0000000072E8: D1000028 011A8540
	v_lshrrev_b32_e32 v40, 16, v40                             // 0000000072F0: 20505090
	v_cmp_u_f32_e64 s[70:71], v97, v97                         // 0000000072F4: D0480046 0002C361
	v_bfe_u32 v64, v97, 16, 1                                  // 0000000072FC: D1C80040 02052161
	v_add3_u32 v64, v97, v64, v67                              // 000000007304: D1FF0040 050E8161
	v_cndmask_b32_e64 v41, v64, v66, s[70:71]                  // 00000000730C: D1000029 011A8540
	v_and_or_b32 v90, v41, v65, v40                            // 000000007314: D201005A 04A28329
	v_cmp_u_f32_e64 s[70:71], v98, v98                         // 00000000731C: D0480046 0002C562
	v_bfe_u32 v64, v98, 16, 1                                  // 000000007324: D1C80040 02052162
	v_add3_u32 v64, v98, v64, v67                              // 00000000732C: D1FF0040 050E8162
	v_cndmask_b32_e64 v40, v64, v66, s[70:71]                  // 000000007334: D1000028 011A8540
	v_lshrrev_b32_e32 v40, 16, v40                             // 00000000733C: 20505090
	v_cmp_u_f32_e64 s[70:71], v99, v99                         // 000000007340: D0480046 0002C763
	v_bfe_u32 v64, v99, 16, 1                                  // 000000007348: D1C80040 02052163
	v_add3_u32 v64, v99, v64, v67                              // 000000007350: D1FF0040 050E8163
	v_cndmask_b32_e64 v41, v64, v66, s[70:71]                  // 000000007358: D1000029 011A8540
	v_and_or_b32 v91, v41, v65, v40                            // 000000007360: D201005B 04A28329
	s_waitcnt lgkmcnt(0)                                       // 000000007368: BF8CC07F
	s_nop 0                                                    // 00000000736C: BF800000
	v_mfma_f32_32x32x8_bf16 v[100:115], a[176:177], v[84:85], v[100:115]// 000000007370: D3E00064 0D92A9B0
	v_mfma_f32_32x32x8_bf16 v[100:115], a[178:179], v[86:87], v[100:115]// 000000007378: D3E00064 0D92ADB2
	v_mfma_f32_32x32x8_bf16 v[100:115], a[180:181], v[88:89], v[100:115]// 000000007380: D3E00064 0D92B1B4
	v_mfma_f32_32x32x8_bf16 v[100:115], a[182:183], v[90:91], v[100:115]// 000000007388: D3E00064 0D92B5B6
	v_mfma_f32_32x32x8_bf16 v[116:131], a[184:185], v[84:85], v[116:131]// 000000007390: D3E00074 0DD2A9B8
	v_mfma_f32_32x32x8_bf16 v[116:131], a[186:187], v[86:87], v[116:131]// 000000007398: D3E00074 0DD2ADBA
	v_mfma_f32_32x32x8_bf16 v[116:131], a[188:189], v[88:89], v[116:131]// 0000000073A0: D3E00074 0DD2B1BC
	v_mfma_f32_32x32x8_bf16 v[116:131], a[190:191], v[90:91], v[116:131]// 0000000073A8: D3E00074 0DD2B5BE
	v_mfma_f32_32x32x8_bf16 v[132:147], a[192:193], v[84:85], v[132:147]// 0000000073B0: D3E00084 0E12A9C0
	v_mfma_f32_32x32x8_bf16 v[132:147], a[194:195], v[86:87], v[132:147]// 0000000073B8: D3E00084 0E12ADC2
	v_mfma_f32_32x32x8_bf16 v[132:147], a[196:197], v[88:89], v[132:147]// 0000000073C0: D3E00084 0E12B1C4
	v_mfma_f32_32x32x8_bf16 v[132:147], a[198:199], v[90:91], v[132:147]// 0000000073C8: D3E00084 0E12B5C6
	v_mfma_f32_32x32x8_bf16 v[148:163], a[200:201], v[84:85], v[148:163]// 0000000073D0: D3E00094 0E52A9C8
	v_mfma_f32_32x32x8_bf16 v[148:163], a[202:203], v[86:87], v[148:163]// 0000000073D8: D3E00094 0E52ADCA
	v_mfma_f32_32x32x8_bf16 v[148:163], a[204:205], v[88:89], v[148:163]// 0000000073E0: D3E00094 0E52B1CC
	v_mfma_f32_32x32x8_bf16 v[148:163], a[206:207], v[90:91], v[148:163]// 0000000073E8: D3E00094 0E52B5CE
	s_branch label_111A                                        // 0000000073F0: BF8200DD

00000000000073f4 <label_103D>:
	s_nop 0                                                    // 0000000073F4: BF800000
	s_nop 0                                                    // 0000000073F8: BF800000
	v_exp_f32_e32 v68, v68                                     // 0000000073FC: 7E884144
	v_exp_f32_e32 v69, v69                                     // 000000007400: 7E8A4145
	v_exp_f32_e32 v70, v70                                     // 000000007404: 7E8C4146
	v_exp_f32_e32 v71, v71                                     // 000000007408: 7E8E4147
	v_exp_f32_e32 v72, v72                                     // 00000000740C: 7E904148
	v_exp_f32_e32 v73, v73                                     // 000000007410: 7E924149
	v_exp_f32_e32 v74, v74                                     // 000000007414: 7E94414A
	v_exp_f32_e32 v75, v75                                     // 000000007418: 7E96414B
	v_exp_f32_e32 v76, v76                                     // 00000000741C: 7E98414C
	v_exp_f32_e32 v77, v77                                     // 000000007420: 7E9A414D
	v_exp_f32_e32 v78, v78                                     // 000000007424: 7E9C414E
	v_exp_f32_e32 v79, v79                                     // 000000007428: 7E9E414F
	v_exp_f32_e32 v80, v80                                     // 00000000742C: 7EA04150
	v_exp_f32_e32 v81, v81                                     // 000000007430: 7EA24151
	v_exp_f32_e32 v82, v82                                     // 000000007434: 7EA44152
	v_exp_f32_e32 v83, v83                                     // 000000007438: 7EA64153
	v_mul_f32_e32 v46, v44, v46                                // 00000000743C: 0A5C5D2C
	v_pk_add_f32 v[62:63], v[68:69], v[70:71]                  // 000000007440: D3B2403E 18028D44
	v_pk_add_f32 v[62:63], v[72:73], v[62:63]                  // 000000007448: D3B2403E 18027D48
	v_pk_add_f32 v[62:63], v[74:75], v[62:63]                  // 000000007450: D3B2403E 18027D4A
	v_pk_add_f32 v[62:63], v[76:77], v[62:63]                  // 000000007458: D3B2403E 18027D4C
	v_pk_add_f32 v[62:63], v[78:79], v[62:63]                  // 000000007460: D3B2403E 18027D4E
	v_pk_add_f32 v[62:63], v[80:81], v[62:63]                  // 000000007468: D3B2403E 18027D50
	v_pk_add_f32 v[62:63], v[82:83], v[62:63]                  // 000000007470: D3B2403E 18027D52
	v_add_f32_e32 v62, v62, v63                                // 000000007478: 027C7F3E
	v_add_f32_e32 v46, v62, v46                                // 00000000747C: 025C5D3E
	v_cmp_u_f32_e64 s[70:71], v68, v68                         // 000000007480: D0480046 00028944
	v_bfe_u32 v64, v68, 16, 1                                  // 000000007488: D1C80040 02052144
	v_add3_u32 v64, v68, v64, v67                              // 000000007490: D1FF0040 050E8144
	v_cndmask_b32_e64 v40, v64, v66, s[70:71]                  // 000000007498: D1000028 011A8540
	v_lshrrev_b32_e32 v40, 16, v40                             // 0000000074A0: 20505090
	v_cmp_u_f32_e64 s[70:71], v69, v69                         // 0000000074A4: D0480046 00028B45
	v_bfe_u32 v64, v69, 16, 1                                  // 0000000074AC: D1C80040 02052145
	v_add3_u32 v64, v69, v64, v67                              // 0000000074B4: D1FF0040 050E8145
	v_cndmask_b32_e64 v41, v64, v66, s[70:71]                  // 0000000074BC: D1000029 011A8540
	v_and_or_b32 v68, v41, v65, v40                            // 0000000074C4: D2010044 04A28329
	v_cmp_u_f32_e64 s[70:71], v70, v70                         // 0000000074CC: D0480046 00028D46
	v_bfe_u32 v64, v70, 16, 1                                  // 0000000074D4: D1C80040 02052146
	v_add3_u32 v64, v70, v64, v67                              // 0000000074DC: D1FF0040 050E8146
	v_cndmask_b32_e64 v40, v64, v66, s[70:71]                  // 0000000074E4: D1000028 011A8540
	v_lshrrev_b32_e32 v40, 16, v40                             // 0000000074EC: 20505090
	v_cmp_u_f32_e64 s[70:71], v71, v71                         // 0000000074F0: D0480046 00028F47
	v_bfe_u32 v64, v71, 16, 1                                  // 0000000074F8: D1C80040 02052147
	v_add3_u32 v64, v71, v64, v67                              // 000000007500: D1FF0040 050E8147
	v_cndmask_b32_e64 v41, v64, v66, s[70:71]                  // 000000007508: D1000029 011A8540
	v_and_or_b32 v69, v41, v65, v40                            // 000000007510: D2010045 04A28329
	v_cmp_u_f32_e64 s[70:71], v72, v72                         // 000000007518: D0480046 00029148
	v_bfe_u32 v64, v72, 16, 1                                  // 000000007520: D1C80040 02052148
	v_add3_u32 v64, v72, v64, v67                              // 000000007528: D1FF0040 050E8148
	v_cndmask_b32_e64 v40, v64, v66, s[70:71]                  // 000000007530: D1000028 011A8540
	v_lshrrev_b32_e32 v40, 16, v40                             // 000000007538: 20505090
	v_cmp_u_f32_e64 s[70:71], v73, v73                         // 00000000753C: D0480046 00029349
	v_bfe_u32 v64, v73, 16, 1                                  // 000000007544: D1C80040 02052149
	v_add3_u32 v64, v73, v64, v67                              // 00000000754C: D1FF0040 050E8149
	v_cndmask_b32_e64 v41, v64, v66, s[70:71]                  // 000000007554: D1000029 011A8540
	v_and_or_b32 v70, v41, v65, v40                            // 00000000755C: D2010046 04A28329
	v_cmp_u_f32_e64 s[70:71], v74, v74                         // 000000007564: D0480046 0002954A
	v_bfe_u32 v64, v74, 16, 1                                  // 00000000756C: D1C80040 0205214A
	v_add3_u32 v64, v74, v64, v67                              // 000000007574: D1FF0040 050E814A
	v_cndmask_b32_e64 v40, v64, v66, s[70:71]                  // 00000000757C: D1000028 011A8540
	v_lshrrev_b32_e32 v40, 16, v40                             // 000000007584: 20505090
	v_cmp_u_f32_e64 s[70:71], v75, v75                         // 000000007588: D0480046 0002974B
	v_bfe_u32 v64, v75, 16, 1                                  // 000000007590: D1C80040 0205214B
	v_add3_u32 v64, v75, v64, v67                              // 000000007598: D1FF0040 050E814B
	v_cndmask_b32_e64 v41, v64, v66, s[70:71]                  // 0000000075A0: D1000029 011A8540
	v_and_or_b32 v71, v41, v65, v40                            // 0000000075A8: D2010047 04A28329
	v_cmp_u_f32_e64 s[70:71], v76, v76                         // 0000000075B0: D0480046 0002994C
	v_bfe_u32 v64, v76, 16, 1                                  // 0000000075B8: D1C80040 0205214C
	v_add3_u32 v64, v76, v64, v67                              // 0000000075C0: D1FF0040 050E814C
	v_cndmask_b32_e64 v40, v64, v66, s[70:71]                  // 0000000075C8: D1000028 011A8540
	v_lshrrev_b32_e32 v40, 16, v40                             // 0000000075D0: 20505090
	v_cmp_u_f32_e64 s[70:71], v77, v77                         // 0000000075D4: D0480046 00029B4D
	v_bfe_u32 v64, v77, 16, 1                                  // 0000000075DC: D1C80040 0205214D
	v_add3_u32 v64, v77, v64, v67                              // 0000000075E4: D1FF0040 050E814D
	v_cndmask_b32_e64 v41, v64, v66, s[70:71]                  // 0000000075EC: D1000029 011A8540
	v_and_or_b32 v72, v41, v65, v40                            // 0000000075F4: D2010048 04A28329
	v_cmp_u_f32_e64 s[70:71], v78, v78                         // 0000000075FC: D0480046 00029D4E
	v_bfe_u32 v64, v78, 16, 1                                  // 000000007604: D1C80040 0205214E
	v_add3_u32 v64, v78, v64, v67                              // 00000000760C: D1FF0040 050E814E
	v_cndmask_b32_e64 v40, v64, v66, s[70:71]                  // 000000007614: D1000028 011A8540
	v_lshrrev_b32_e32 v40, 16, v40                             // 00000000761C: 20505090
	v_cmp_u_f32_e64 s[70:71], v79, v79                         // 000000007620: D0480046 00029F4F
	v_bfe_u32 v64, v79, 16, 1                                  // 000000007628: D1C80040 0205214F
	v_add3_u32 v64, v79, v64, v67                              // 000000007630: D1FF0040 050E814F
	v_cndmask_b32_e64 v41, v64, v66, s[70:71]                  // 000000007638: D1000029 011A8540
	v_and_or_b32 v73, v41, v65, v40                            // 000000007640: D2010049 04A28329
	v_cmp_u_f32_e64 s[70:71], v80, v80                         // 000000007648: D0480046 0002A150
	v_bfe_u32 v64, v80, 16, 1                                  // 000000007650: D1C80040 02052150
	v_add3_u32 v64, v80, v64, v67                              // 000000007658: D1FF0040 050E8150
	v_cndmask_b32_e64 v40, v64, v66, s[70:71]                  // 000000007660: D1000028 011A8540
	v_lshrrev_b32_e32 v40, 16, v40                             // 000000007668: 20505090
	v_cmp_u_f32_e64 s[70:71], v81, v81                         // 00000000766C: D0480046 0002A351
	v_bfe_u32 v64, v81, 16, 1                                  // 000000007674: D1C80040 02052151
	v_add3_u32 v64, v81, v64, v67                              // 00000000767C: D1FF0040 050E8151
	v_cndmask_b32_e64 v41, v64, v66, s[70:71]                  // 000000007684: D1000029 011A8540
	v_and_or_b32 v74, v41, v65, v40                            // 00000000768C: D201004A 04A28329
	v_cmp_u_f32_e64 s[70:71], v82, v82                         // 000000007694: D0480046 0002A552
	v_bfe_u32 v64, v82, 16, 1                                  // 00000000769C: D1C80040 02052152
	v_add3_u32 v64, v82, v64, v67                              // 0000000076A4: D1FF0040 050E8152
	v_cndmask_b32_e64 v40, v64, v66, s[70:71]                  // 0000000076AC: D1000028 011A8540
	v_lshrrev_b32_e32 v40, 16, v40                             // 0000000076B4: 20505090
	v_cmp_u_f32_e64 s[70:71], v83, v83                         // 0000000076B8: D0480046 0002A753
	v_bfe_u32 v64, v83, 16, 1                                  // 0000000076C0: D1C80040 02052153
	v_add3_u32 v64, v83, v64, v67                              // 0000000076C8: D1FF0040 050E8153
	v_cndmask_b32_e64 v41, v64, v66, s[70:71]                  // 0000000076D0: D1000029 011A8540
	v_and_or_b32 v75, v41, v65, v40                            // 0000000076D8: D201004B 04A28329
	s_waitcnt lgkmcnt(0)                                       // 0000000076E0: BF8CC07F
	s_nop 0                                                    // 0000000076E4: BF800000
	v_mfma_f32_32x32x8_bf16 v[100:115], a[144:145], v[68:69], v[100:115]// 0000000076E8: D3E00064 0D928990
	v_mfma_f32_32x32x8_bf16 v[100:115], a[146:147], v[70:71], v[100:115]// 0000000076F0: D3E00064 0D928D92
	v_mfma_f32_32x32x8_bf16 v[100:115], a[148:149], v[72:73], v[100:115]// 0000000076F8: D3E00064 0D929194
	v_mfma_f32_32x32x8_bf16 v[100:115], a[150:151], v[74:75], v[100:115]// 000000007700: D3E00064 0D929596
	v_mfma_f32_32x32x8_bf16 v[116:131], a[152:153], v[68:69], v[116:131]// 000000007708: D3E00074 0DD28998
	v_mfma_f32_32x32x8_bf16 v[116:131], a[154:155], v[70:71], v[116:131]// 000000007710: D3E00074 0DD28D9A
	v_mfma_f32_32x32x8_bf16 v[116:131], a[156:157], v[72:73], v[116:131]// 000000007718: D3E00074 0DD2919C
	v_mfma_f32_32x32x8_bf16 v[116:131], a[158:159], v[74:75], v[116:131]// 000000007720: D3E00074 0DD2959E
	v_mfma_f32_32x32x8_bf16 v[132:147], a[160:161], v[68:69], v[132:147]// 000000007728: D3E00084 0E1289A0
	v_mfma_f32_32x32x8_bf16 v[132:147], a[162:163], v[70:71], v[132:147]// 000000007730: D3E00084 0E128DA2
	v_mfma_f32_32x32x8_bf16 v[132:147], a[164:165], v[72:73], v[132:147]// 000000007738: D3E00084 0E1291A4
	v_mfma_f32_32x32x8_bf16 v[132:147], a[166:167], v[74:75], v[132:147]// 000000007740: D3E00084 0E1295A6
	v_mfma_f32_32x32x8_bf16 v[148:163], a[168:169], v[68:69], v[148:163]// 000000007748: D3E00094 0E5289A8
	v_mfma_f32_32x32x8_bf16 v[148:163], a[170:171], v[70:71], v[148:163]// 000000007750: D3E00094 0E528DAA
	v_mfma_f32_32x32x8_bf16 v[148:163], a[172:173], v[72:73], v[148:163]// 000000007758: D3E00094 0E5291AC
	v_mfma_f32_32x32x8_bf16 v[148:163], a[174:175], v[74:75], v[148:163]// 000000007760: D3E00094 0E5295AE

0000000000007768 <label_111A>:
	v_cvt_f32_u32_e32 v40, s62                                 // 000000007768: 7E500C3E
	s_sub_i32 s40, 0, s62                                      // 00000000776C: 81A83E80
	v_rcp_iflag_f32_e32 v40, v40                               // 000000007770: 7E504728
	s_nop 0                                                    // 000000007774: BF800000
	v_mul_f32_e32 v40, 0x4f7ffffe, v40                         // 000000007778: 0A5050FF 4F7FFFFE
	v_cvt_u32_f32_e32 v40, v40                                 // 000000007780: 7E500F28
	v_mul_lo_u32 v41, s40, v40                                 // 000000007784: D2850029 00025028
	v_mul_hi_u32 v41, v40, v41                                 // 00000000778C: D2860029 00025328
	v_add_u32_e32 v40, v40, v41                                // 000000007794: 68505328
	v_mul_hi_u32 v40, s63, v40                                 // 000000007798: D2860028 0002503F
	v_mul_lo_u32 v41, v40, s62                                 // 0000000077A0: D2850029 00007D28
	v_sub_u32_e32 v43, s63, v41                                // 0000000077A8: 6A56523F
	v_add_u32_e32 v42, 1, v40                                  // 0000000077AC: 68545081
	v_cmp_le_u32_e32 vcc, s62, v43                             // 0000000077B0: 7D96563E
	v_subrev_u32_e32 v41, s62, v43                             // 0000000077B4: 6C52563E
	s_nop 0                                                    // 0000000077B8: BF800000
	v_cndmask_b32_e32 v40, v40, v42, vcc                       // 0000000077BC: 00505528
	v_cndmask_b32_e32 v43, v43, v41, vcc                       // 0000000077C0: 0056532B
	v_add_u32_e32 v41, 1, v40                                  // 0000000077C4: 68525081
	v_cmp_le_u32_e32 vcc, s62, v43                             // 0000000077C8: 7D96563E
	s_nop 1                                                    // 0000000077CC: BF800001
	v_cndmask_b32_e32 v43, v40, v41, vcc                       // 0000000077D0: 00565328
	s_nop 3                                                    // 0000000077D4: BF800003
	v_readfirstlane_b32 s63, v43                               // 0000000077D8: 7E7E052B
	s_nop 3                                                    // 0000000077DC: BF800003
	s_mul_i32 s63, s63, s83                                    // 0000000077E0: 923F533F
	v_lshrrev_b32_e32 v40, 3, v0                               // 0000000077E4: 20500083
	v_mul_i32_i24_e32 v28, s83, v40                            // 0000000077E8: 0C385053
	v_and_b32_e32 v40, 7, v0                                   // 0000000077EC: 26500087
	v_mul_i32_i24_e32 v40, 16, v40                             // 0000000077F0: 0C505090
	v_add_u32_e32 v28, v40, v28                                // 0000000077F4: 68383928
	s_mul_i32 s40, s5, s83                                     // 0000000077F8: 92285305
	s_mul_i32 s40, s40, 32                                     // 0000000077FC: 9228A028
	s_add_u32 s40, s63, s40                                    // 000000007800: 8028283F
	v_add_u32_e32 v28, s40, v28                                // 000000007804: 68383828
	s_mul_i32 s40, s83, 8                                      // 000000007808: 92288853
	v_add_u32_e32 v29, s40, v28                                // 00000000780C: 683A3828
	v_add_u32_e32 v30, s40, v29                                // 000000007810: 683C3A28
	v_add_u32_e32 v31, s40, v30                                // 000000007814: 683E3C28
	s_mul_i32 s40, s3, 0x80                                    // 000000007818: 9228FF03 00000080
	v_and_b32_e32 v3, 31, v0                                   // 000000007820: 2606009F
	v_add_u32_e32 v3, s40, v3                                  // 000000007824: 68060628
	s_mul_i32 s40, s5, 32                                      // 000000007828: 9228A005
	v_add_u32_e32 v3, s40, v3                                  // 00000000782C: 68060628
	v_lshlrev_b32_e32 v3, 2, v3                                // 000000007830: 24060682
	ds_permute_b32 v40, v56, v46                               // 000000007834: D87C0000 28002E38
	s_waitcnt lgkmcnt(0)                                       // 00000000783C: BF8CC07F
	v_add_f32_e32 v46, v40, v46                                // 000000007840: 025C5D28
	v_mul_f32_e64 v40, v52, s28                                // 000000007844: D1050028 00003934
	v_log_f32_e32 v41, v46                                     // 00000000784C: 7E52432E
	v_cmp_eq_f32_e64 s[40:41], v46, 0                          // 000000007850: D0420028 0001012E
	s_nop 1                                                    // 000000007858: BF800001
	v_rcp_f32_e32 v46, v46                                     // 00000000785C: 7E5C452E
	s_nop 1                                                    // 000000007860: BF800001
	v_cndmask_b32_e64 v46, v46, 0, s[40:41]                    // 000000007864: D100002E 00A1012E
	v_fma_f32 v2, v41, s45, v40                                // 00000000786C: D1CB0002 04A05B29
	v_mov_b32_e32 v47, v46                                     // 000000007874: 7E5E032E
	v_lshrrev_b32_e32 v40, 5, v0                               // 000000007878: 20500085
	v_mul_i32_i24_e32 v59, 0x42, v40                           // 00000000787C: 0C7650FF 00000042
	v_and_b32_e32 v40, 31, v0                                  // 000000007884: 2650009F
	v_mul_i32_i24_e32 v40, 2, v40                              // 000000007888: 0C505082
	v_add_u32_e32 v59, v40, v59                                // 00000000788C: 68767728
	s_mul_i32 s40, s5, 0x420                                   // 000000007890: 9228FF05 00000420
	v_add_u32_e32 v59, s40, v59                                // 000000007898: 68767628
	v_lshlrev_b32_e32 v59, 2, v59                              // 00000000789C: 24767682
	v_lshrrev_b32_e32 v40, 3, v0                               // 0000000078A0: 20500083
	v_mul_i32_i24_e32 v58, 2, v40                              // 0000000078A4: 0C745082
	v_and_b32_e32 v40, 7, v0                                   // 0000000078A8: 26500087
	v_mul_i32_i24_e32 v40, 0x84, v40                           // 0000000078AC: 0C5050FF 00000084
	v_add_u32_e32 v58, v40, v58                                // 0000000078B4: 68747528
	s_mul_i32 s40, s5, 0x420                                   // 0000000078B8: 9228FF05 00000420
	v_add_u32_e32 v58, s40, v58                                // 0000000078C0: 68747428
	v_lshlrev_b32_e32 v58, 2, v58                              // 0000000078C4: 24747482
	s_waitcnt vmcnt(0) expcnt(0) lgkmcnt(0)                    // 0000000078C8: BF8C0000
	s_barrier                                                  // 0000000078CC: BF8A0000
	v_pk_mul_f32 v[100:101], v[46:47], v[100:101]              // 0000000078D0: D3B14064 1802C92E
	v_pk_mul_f32 v[102:103], v[46:47], v[102:103]              // 0000000078D8: D3B14066 1802CD2E
	v_pk_mul_f32 v[104:105], v[46:47], v[104:105]              // 0000000078E0: D3B14068 1802D12E
	v_pk_mul_f32 v[106:107], v[46:47], v[106:107]              // 0000000078E8: D3B1406A 1802D52E
	v_pk_mul_f32 v[108:109], v[46:47], v[108:109]              // 0000000078F0: D3B1406C 1802D92E
	v_pk_mul_f32 v[110:111], v[46:47], v[110:111]              // 0000000078F8: D3B1406E 1802DD2E
	v_pk_mul_f32 v[112:113], v[46:47], v[112:113]              // 000000007900: D3B14070 1802E12E
	v_pk_mul_f32 v[114:115], v[46:47], v[114:115]              // 000000007908: D3B14072 1802E52E
	v_pk_mul_f32 v[116:117], v[46:47], v[116:117]              // 000000007910: D3B14074 1802E92E
	v_pk_mul_f32 v[118:119], v[46:47], v[118:119]              // 000000007918: D3B14076 1802ED2E
	v_pk_mul_f32 v[120:121], v[46:47], v[120:121]              // 000000007920: D3B14078 1802F12E
	v_pk_mul_f32 v[122:123], v[46:47], v[122:123]              // 000000007928: D3B1407A 1802F52E
	v_pk_mul_f32 v[124:125], v[46:47], v[124:125]              // 000000007930: D3B1407C 1802F92E
	v_pk_mul_f32 v[126:127], v[46:47], v[126:127]              // 000000007938: D3B1407E 1802FD2E
	v_pk_mul_f32 v[128:129], v[46:47], v[128:129]              // 000000007940: D3B14080 1803012E
	v_pk_mul_f32 v[130:131], v[46:47], v[130:131]              // 000000007948: D3B14082 1803052E
	v_cmp_u_f32_e64 s[70:71], v100, v100                       // 000000007950: D0480046 0002C964
	v_bfe_u32 v64, v100, 16, 1                                 // 000000007958: D1C80040 02052164
	v_add3_u32 v64, v100, v64, v67                             // 000000007960: D1FF0040 050E8164
	v_cndmask_b32_e64 v40, v64, v66, s[70:71]                  // 000000007968: D1000028 011A8540
	v_lshrrev_b32_e32 v40, 16, v40                             // 000000007970: 20505090
	v_cmp_u_f32_e64 s[70:71], v101, v101                       // 000000007974: D0480046 0002CB65
	v_bfe_u32 v64, v101, 16, 1                                 // 00000000797C: D1C80040 02052165
	v_add3_u32 v64, v101, v64, v67                             // 000000007984: D1FF0040 050E8165
	v_cndmask_b32_e64 v41, v64, v66, s[70:71]                  // 00000000798C: D1000029 011A8540
	v_and_or_b32 v100, v41, v65, v40                           // 000000007994: D2010064 04A28329
	v_cmp_u_f32_e64 s[70:71], v102, v102                       // 00000000799C: D0480046 0002CD66
	v_bfe_u32 v64, v102, 16, 1                                 // 0000000079A4: D1C80040 02052166
	v_add3_u32 v64, v102, v64, v67                             // 0000000079AC: D1FF0040 050E8166
	v_cndmask_b32_e64 v40, v64, v66, s[70:71]                  // 0000000079B4: D1000028 011A8540
	v_lshrrev_b32_e32 v40, 16, v40                             // 0000000079BC: 20505090
	v_cmp_u_f32_e64 s[70:71], v103, v103                       // 0000000079C0: D0480046 0002CF67
	v_bfe_u32 v64, v103, 16, 1                                 // 0000000079C8: D1C80040 02052167
	v_add3_u32 v64, v103, v64, v67                             // 0000000079D0: D1FF0040 050E8167
	v_cndmask_b32_e64 v41, v64, v66, s[70:71]                  // 0000000079D8: D1000029 011A8540
	v_and_or_b32 v101, v41, v65, v40                           // 0000000079E0: D2010065 04A28329
	v_cmp_u_f32_e64 s[70:71], v104, v104                       // 0000000079E8: D0480046 0002D168
	v_bfe_u32 v64, v104, 16, 1                                 // 0000000079F0: D1C80040 02052168
	v_add3_u32 v64, v104, v64, v67                             // 0000000079F8: D1FF0040 050E8168
	v_cndmask_b32_e64 v40, v64, v66, s[70:71]                  // 000000007A00: D1000028 011A8540
	v_lshrrev_b32_e32 v40, 16, v40                             // 000000007A08: 20505090
	v_cmp_u_f32_e64 s[70:71], v105, v105                       // 000000007A0C: D0480046 0002D369
	v_bfe_u32 v64, v105, 16, 1                                 // 000000007A14: D1C80040 02052169
	v_add3_u32 v64, v105, v64, v67                             // 000000007A1C: D1FF0040 050E8169
	v_cndmask_b32_e64 v41, v64, v66, s[70:71]                  // 000000007A24: D1000029 011A8540
	v_and_or_b32 v102, v41, v65, v40                           // 000000007A2C: D2010066 04A28329
	v_cmp_u_f32_e64 s[70:71], v106, v106                       // 000000007A34: D0480046 0002D56A
	v_bfe_u32 v64, v106, 16, 1                                 // 000000007A3C: D1C80040 0205216A
	v_add3_u32 v64, v106, v64, v67                             // 000000007A44: D1FF0040 050E816A
	v_cndmask_b32_e64 v40, v64, v66, s[70:71]                  // 000000007A4C: D1000028 011A8540
	v_lshrrev_b32_e32 v40, 16, v40                             // 000000007A54: 20505090
	v_cmp_u_f32_e64 s[70:71], v107, v107                       // 000000007A58: D0480046 0002D76B
	v_bfe_u32 v64, v107, 16, 1                                 // 000000007A60: D1C80040 0205216B
	v_add3_u32 v64, v107, v64, v67                             // 000000007A68: D1FF0040 050E816B
	v_cndmask_b32_e64 v41, v64, v66, s[70:71]                  // 000000007A70: D1000029 011A8540
	v_and_or_b32 v103, v41, v65, v40                           // 000000007A78: D2010067 04A28329
	v_cmp_u_f32_e64 s[70:71], v108, v108                       // 000000007A80: D0480046 0002D96C
	v_bfe_u32 v64, v108, 16, 1                                 // 000000007A88: D1C80040 0205216C
	v_add3_u32 v64, v108, v64, v67                             // 000000007A90: D1FF0040 050E816C
	v_cndmask_b32_e64 v40, v64, v66, s[70:71]                  // 000000007A98: D1000028 011A8540
	v_lshrrev_b32_e32 v40, 16, v40                             // 000000007AA0: 20505090
	v_cmp_u_f32_e64 s[70:71], v109, v109                       // 000000007AA4: D0480046 0002DB6D
	v_bfe_u32 v64, v109, 16, 1                                 // 000000007AAC: D1C80040 0205216D
	v_add3_u32 v64, v109, v64, v67                             // 000000007AB4: D1FF0040 050E816D
	v_cndmask_b32_e64 v41, v64, v66, s[70:71]                  // 000000007ABC: D1000029 011A8540
	v_and_or_b32 v104, v41, v65, v40                           // 000000007AC4: D2010068 04A28329
	v_cmp_u_f32_e64 s[70:71], v110, v110                       // 000000007ACC: D0480046 0002DD6E
	v_bfe_u32 v64, v110, 16, 1                                 // 000000007AD4: D1C80040 0205216E
	v_add3_u32 v64, v110, v64, v67                             // 000000007ADC: D1FF0040 050E816E
	v_cndmask_b32_e64 v40, v64, v66, s[70:71]                  // 000000007AE4: D1000028 011A8540
	v_lshrrev_b32_e32 v40, 16, v40                             // 000000007AEC: 20505090
	v_cmp_u_f32_e64 s[70:71], v111, v111                       // 000000007AF0: D0480046 0002DF6F
	v_bfe_u32 v64, v111, 16, 1                                 // 000000007AF8: D1C80040 0205216F
	v_add3_u32 v64, v111, v64, v67                             // 000000007B00: D1FF0040 050E816F
	v_cndmask_b32_e64 v41, v64, v66, s[70:71]                  // 000000007B08: D1000029 011A8540
	v_and_or_b32 v105, v41, v65, v40                           // 000000007B10: D2010069 04A28329
	v_cmp_u_f32_e64 s[70:71], v112, v112                       // 000000007B18: D0480046 0002E170
	v_bfe_u32 v64, v112, 16, 1                                 // 000000007B20: D1C80040 02052170
	v_add3_u32 v64, v112, v64, v67                             // 000000007B28: D1FF0040 050E8170
	v_cndmask_b32_e64 v40, v64, v66, s[70:71]                  // 000000007B30: D1000028 011A8540
	v_lshrrev_b32_e32 v40, 16, v40                             // 000000007B38: 20505090
	v_cmp_u_f32_e64 s[70:71], v113, v113                       // 000000007B3C: D0480046 0002E371
	v_bfe_u32 v64, v113, 16, 1                                 // 000000007B44: D1C80040 02052171
	v_add3_u32 v64, v113, v64, v67                             // 000000007B4C: D1FF0040 050E8171
	v_cndmask_b32_e64 v41, v64, v66, s[70:71]                  // 000000007B54: D1000029 011A8540
	v_and_or_b32 v106, v41, v65, v40                           // 000000007B5C: D201006A 04A28329
	v_cmp_u_f32_e64 s[70:71], v114, v114                       // 000000007B64: D0480046 0002E572
	v_bfe_u32 v64, v114, 16, 1                                 // 000000007B6C: D1C80040 02052172
	v_add3_u32 v64, v114, v64, v67                             // 000000007B74: D1FF0040 050E8172
	v_cndmask_b32_e64 v40, v64, v66, s[70:71]                  // 000000007B7C: D1000028 011A8540
	v_lshrrev_b32_e32 v40, 16, v40                             // 000000007B84: 20505090
	v_cmp_u_f32_e64 s[70:71], v115, v115                       // 000000007B88: D0480046 0002E773
	v_bfe_u32 v64, v115, 16, 1                                 // 000000007B90: D1C80040 02052173
	v_add3_u32 v64, v115, v64, v67                             // 000000007B98: D1FF0040 050E8173
	v_cndmask_b32_e64 v41, v64, v66, s[70:71]                  // 000000007BA0: D1000029 011A8540
	v_and_or_b32 v107, v41, v65, v40                           // 000000007BA8: D201006B 04A28329
	v_cmp_u_f32_e64 s[70:71], v116, v116                       // 000000007BB0: D0480046 0002E974
	v_bfe_u32 v64, v116, 16, 1                                 // 000000007BB8: D1C80040 02052174
	v_add3_u32 v64, v116, v64, v67                             // 000000007BC0: D1FF0040 050E8174
	v_cndmask_b32_e64 v40, v64, v66, s[70:71]                  // 000000007BC8: D1000028 011A8540
	v_lshrrev_b32_e32 v40, 16, v40                             // 000000007BD0: 20505090
	v_cmp_u_f32_e64 s[70:71], v117, v117                       // 000000007BD4: D0480046 0002EB75
	v_bfe_u32 v64, v117, 16, 1                                 // 000000007BDC: D1C80040 02052175
	v_add3_u32 v64, v117, v64, v67                             // 000000007BE4: D1FF0040 050E8175
	v_cndmask_b32_e64 v41, v64, v66, s[70:71]                  // 000000007BEC: D1000029 011A8540
	v_and_or_b32 v108, v41, v65, v40                           // 000000007BF4: D201006C 04A28329
	v_cmp_u_f32_e64 s[70:71], v118, v118                       // 000000007BFC: D0480046 0002ED76
	v_bfe_u32 v64, v118, 16, 1                                 // 000000007C04: D1C80040 02052176
	v_add3_u32 v64, v118, v64, v67                             // 000000007C0C: D1FF0040 050E8176
	v_cndmask_b32_e64 v40, v64, v66, s[70:71]                  // 000000007C14: D1000028 011A8540
	v_lshrrev_b32_e32 v40, 16, v40                             // 000000007C1C: 20505090
	v_cmp_u_f32_e64 s[70:71], v119, v119                       // 000000007C20: D0480046 0002EF77
	v_bfe_u32 v64, v119, 16, 1                                 // 000000007C28: D1C80040 02052177
	v_add3_u32 v64, v119, v64, v67                             // 000000007C30: D1FF0040 050E8177
	v_cndmask_b32_e64 v41, v64, v66, s[70:71]                  // 000000007C38: D1000029 011A8540
	v_and_or_b32 v109, v41, v65, v40                           // 000000007C40: D201006D 04A28329
	v_cmp_u_f32_e64 s[70:71], v120, v120                       // 000000007C48: D0480046 0002F178
	v_bfe_u32 v64, v120, 16, 1                                 // 000000007C50: D1C80040 02052178
	v_add3_u32 v64, v120, v64, v67                             // 000000007C58: D1FF0040 050E8178
	v_cndmask_b32_e64 v40, v64, v66, s[70:71]                  // 000000007C60: D1000028 011A8540
	v_lshrrev_b32_e32 v40, 16, v40                             // 000000007C68: 20505090
	v_cmp_u_f32_e64 s[70:71], v121, v121                       // 000000007C6C: D0480046 0002F379
	v_bfe_u32 v64, v121, 16, 1                                 // 000000007C74: D1C80040 02052179
	v_add3_u32 v64, v121, v64, v67                             // 000000007C7C: D1FF0040 050E8179
	v_cndmask_b32_e64 v41, v64, v66, s[70:71]                  // 000000007C84: D1000029 011A8540
	v_and_or_b32 v110, v41, v65, v40                           // 000000007C8C: D201006E 04A28329
	v_cmp_u_f32_e64 s[70:71], v122, v122                       // 000000007C94: D0480046 0002F57A
	v_bfe_u32 v64, v122, 16, 1                                 // 000000007C9C: D1C80040 0205217A
	v_add3_u32 v64, v122, v64, v67                             // 000000007CA4: D1FF0040 050E817A
	v_cndmask_b32_e64 v40, v64, v66, s[70:71]                  // 000000007CAC: D1000028 011A8540
	v_lshrrev_b32_e32 v40, 16, v40                             // 000000007CB4: 20505090
	v_cmp_u_f32_e64 s[70:71], v123, v123                       // 000000007CB8: D0480046 0002F77B
	v_bfe_u32 v64, v123, 16, 1                                 // 000000007CC0: D1C80040 0205217B
	v_add3_u32 v64, v123, v64, v67                             // 000000007CC8: D1FF0040 050E817B
	v_cndmask_b32_e64 v41, v64, v66, s[70:71]                  // 000000007CD0: D1000029 011A8540
	v_and_or_b32 v111, v41, v65, v40                           // 000000007CD8: D201006F 04A28329
	v_cmp_u_f32_e64 s[70:71], v124, v124                       // 000000007CE0: D0480046 0002F97C
	v_bfe_u32 v64, v124, 16, 1                                 // 000000007CE8: D1C80040 0205217C
	v_add3_u32 v64, v124, v64, v67                             // 000000007CF0: D1FF0040 050E817C
	v_cndmask_b32_e64 v40, v64, v66, s[70:71]                  // 000000007CF8: D1000028 011A8540
	v_lshrrev_b32_e32 v40, 16, v40                             // 000000007D00: 20505090
	v_cmp_u_f32_e64 s[70:71], v125, v125                       // 000000007D04: D0480046 0002FB7D
	v_bfe_u32 v64, v125, 16, 1                                 // 000000007D0C: D1C80040 0205217D
	v_add3_u32 v64, v125, v64, v67                             // 000000007D14: D1FF0040 050E817D
	v_cndmask_b32_e64 v41, v64, v66, s[70:71]                  // 000000007D1C: D1000029 011A8540
	v_and_or_b32 v112, v41, v65, v40                           // 000000007D24: D2010070 04A28329
	v_cmp_u_f32_e64 s[70:71], v126, v126                       // 000000007D2C: D0480046 0002FD7E
	v_bfe_u32 v64, v126, 16, 1                                 // 000000007D34: D1C80040 0205217E
	v_add3_u32 v64, v126, v64, v67                             // 000000007D3C: D1FF0040 050E817E
	v_cndmask_b32_e64 v40, v64, v66, s[70:71]                  // 000000007D44: D1000028 011A8540
	v_lshrrev_b32_e32 v40, 16, v40                             // 000000007D4C: 20505090
	v_cmp_u_f32_e64 s[70:71], v127, v127                       // 000000007D50: D0480046 0002FF7F
	v_bfe_u32 v64, v127, 16, 1                                 // 000000007D58: D1C80040 0205217F
	v_add3_u32 v64, v127, v64, v67                             // 000000007D60: D1FF0040 050E817F
	v_cndmask_b32_e64 v41, v64, v66, s[70:71]                  // 000000007D68: D1000029 011A8540
	v_and_or_b32 v113, v41, v65, v40                           // 000000007D70: D2010071 04A28329
	v_cmp_u_f32_e64 s[70:71], v128, v128                       // 000000007D78: D0480046 00030180
	v_bfe_u32 v64, v128, 16, 1                                 // 000000007D80: D1C80040 02052180
	v_add3_u32 v64, v128, v64, v67                             // 000000007D88: D1FF0040 050E8180
	v_cndmask_b32_e64 v40, v64, v66, s[70:71]                  // 000000007D90: D1000028 011A8540
	v_lshrrev_b32_e32 v40, 16, v40                             // 000000007D98: 20505090
	v_cmp_u_f32_e64 s[70:71], v129, v129                       // 000000007D9C: D0480046 00030381
	v_bfe_u32 v64, v129, 16, 1                                 // 000000007DA4: D1C80040 02052181
	v_add3_u32 v64, v129, v64, v67                             // 000000007DAC: D1FF0040 050E8181
	v_cndmask_b32_e64 v41, v64, v66, s[70:71]                  // 000000007DB4: D1000029 011A8540
	v_and_or_b32 v114, v41, v65, v40                           // 000000007DBC: D2010072 04A28329
	v_cmp_u_f32_e64 s[70:71], v130, v130                       // 000000007DC4: D0480046 00030582
	v_bfe_u32 v64, v130, 16, 1                                 // 000000007DCC: D1C80040 02052182
	v_add3_u32 v64, v130, v64, v67                             // 000000007DD4: D1FF0040 050E8182
	v_cndmask_b32_e64 v40, v64, v66, s[70:71]                  // 000000007DDC: D1000028 011A8540
	v_lshrrev_b32_e32 v40, 16, v40                             // 000000007DE4: 20505090
	v_cmp_u_f32_e64 s[70:71], v131, v131                       // 000000007DE8: D0480046 00030783
	v_bfe_u32 v64, v131, 16, 1                                 // 000000007DF0: D1C80040 02052183
	v_add3_u32 v64, v131, v64, v67                             // 000000007DF8: D1FF0040 050E8183
	v_cndmask_b32_e64 v41, v64, v66, s[70:71]                  // 000000007E00: D1000029 011A8540
	v_and_or_b32 v115, v41, v65, v40                           // 000000007E08: D2010073 04A28329
	ds_write_b64 v59, v[100:101]                               // 000000007E10: D89A0000 0000643B
	ds_write_b64 v59, v[102:103] offset:528                    // 000000007E18: D89A0210 0000663B
	ds_write_b64 v59, v[104:105] offset:1056                   // 000000007E20: D89A0420 0000683B
	ds_write_b64 v59, v[106:107] offset:1584                   // 000000007E28: D89A0630 00006A3B
	ds_write_b64 v59, v[108:109] offset:2112                   // 000000007E30: D89A0840 00006C3B
	ds_write_b64 v59, v[110:111] offset:2640                   // 000000007E38: D89A0A50 00006E3B
	ds_write_b64 v59, v[112:113] offset:3168                   // 000000007E40: D89A0C60 0000703B
	ds_write_b64 v59, v[114:115] offset:3696                   // 000000007E48: D89A0E70 0000723B
	s_waitcnt vmcnt(0) expcnt(0) lgkmcnt(0)                    // 000000007E50: BF8C0000
	ds_read_b64 v[100:101], v58                                // 000000007E54: D8EC0000 6400003A
	ds_read_b64 v[102:103], v58 offset:264                     // 000000007E5C: D8EC0108 6600003A
	ds_read_b64 v[104:105], v58 offset:64                      // 000000007E64: D8EC0040 6800003A
	ds_read_b64 v[106:107], v58 offset:328                     // 000000007E6C: D8EC0148 6A00003A
	ds_read_b64 v[108:109], v58 offset:128                     // 000000007E74: D8EC0080 6C00003A
	ds_read_b64 v[110:111], v58 offset:392                     // 000000007E7C: D8EC0188 6E00003A
	ds_read_b64 v[112:113], v58 offset:192                     // 000000007E84: D8EC00C0 7000003A
	ds_read_b64 v[114:115], v58 offset:456                     // 000000007E8C: D8EC01C8 7200003A
	s_waitcnt vmcnt(0) expcnt(0) lgkmcnt(0)                    // 000000007E94: BF8C0000
	buffer_store_dwordx4 v[100:103], v28, s[20:23], 0 offen    // 000000007E98: E07C1000 8005641C
	buffer_store_dwordx4 v[104:107], v29, s[20:23], 0 offen    // 000000007EA0: E07C1000 8005681D
	buffer_store_dwordx4 v[108:111], v30, s[20:23], 0 offen    // 000000007EA8: E07C1000 80056C1E
	buffer_store_dwordx4 v[112:115], v31, s[20:23], 0 offen    // 000000007EB0: E07C1000 8005701F
	v_pk_mul_f32 v[132:133], v[46:47], v[132:133]              // 000000007EB8: D3B14084 1803092E
	v_pk_mul_f32 v[134:135], v[46:47], v[134:135]              // 000000007EC0: D3B14086 18030D2E
	v_pk_mul_f32 v[136:137], v[46:47], v[136:137]              // 000000007EC8: D3B14088 1803112E
	v_pk_mul_f32 v[138:139], v[46:47], v[138:139]              // 000000007ED0: D3B1408A 1803152E
	v_pk_mul_f32 v[140:141], v[46:47], v[140:141]              // 000000007ED8: D3B1408C 1803192E
	v_pk_mul_f32 v[142:143], v[46:47], v[142:143]              // 000000007EE0: D3B1408E 18031D2E
	v_pk_mul_f32 v[144:145], v[46:47], v[144:145]              // 000000007EE8: D3B14090 1803212E
	v_pk_mul_f32 v[146:147], v[46:47], v[146:147]              // 000000007EF0: D3B14092 1803252E
	v_pk_mul_f32 v[148:149], v[46:47], v[148:149]              // 000000007EF8: D3B14094 1803292E
	v_pk_mul_f32 v[150:151], v[46:47], v[150:151]              // 000000007F00: D3B14096 18032D2E
	v_pk_mul_f32 v[152:153], v[46:47], v[152:153]              // 000000007F08: D3B14098 1803312E
	v_pk_mul_f32 v[154:155], v[46:47], v[154:155]              // 000000007F10: D3B1409A 1803352E
	v_pk_mul_f32 v[156:157], v[46:47], v[156:157]              // 000000007F18: D3B1409C 1803392E
	v_pk_mul_f32 v[158:159], v[46:47], v[158:159]              // 000000007F20: D3B1409E 18033D2E
	v_pk_mul_f32 v[160:161], v[46:47], v[160:161]              // 000000007F28: D3B140A0 1803412E
	v_pk_mul_f32 v[162:163], v[46:47], v[162:163]              // 000000007F30: D3B140A2 1803452E
	v_cmp_u_f32_e64 s[70:71], v132, v132                       // 000000007F38: D0480046 00030984
	v_bfe_u32 v64, v132, 16, 1                                 // 000000007F40: D1C80040 02052184
	v_add3_u32 v64, v132, v64, v67                             // 000000007F48: D1FF0040 050E8184
	v_cndmask_b32_e64 v40, v64, v66, s[70:71]                  // 000000007F50: D1000028 011A8540
	v_lshrrev_b32_e32 v40, 16, v40                             // 000000007F58: 20505090
	v_cmp_u_f32_e64 s[70:71], v133, v133                       // 000000007F5C: D0480046 00030B85
	v_bfe_u32 v64, v133, 16, 1                                 // 000000007F64: D1C80040 02052185
	v_add3_u32 v64, v133, v64, v67                             // 000000007F6C: D1FF0040 050E8185
	v_cndmask_b32_e64 v41, v64, v66, s[70:71]                  // 000000007F74: D1000029 011A8540
	v_and_or_b32 v132, v41, v65, v40                           // 000000007F7C: D2010084 04A28329
	v_cmp_u_f32_e64 s[70:71], v134, v134                       // 000000007F84: D0480046 00030D86
	v_bfe_u32 v64, v134, 16, 1                                 // 000000007F8C: D1C80040 02052186
	v_add3_u32 v64, v134, v64, v67                             // 000000007F94: D1FF0040 050E8186
	v_cndmask_b32_e64 v40, v64, v66, s[70:71]                  // 000000007F9C: D1000028 011A8540
	v_lshrrev_b32_e32 v40, 16, v40                             // 000000007FA4: 20505090
	v_cmp_u_f32_e64 s[70:71], v135, v135                       // 000000007FA8: D0480046 00030F87
	v_bfe_u32 v64, v135, 16, 1                                 // 000000007FB0: D1C80040 02052187
	v_add3_u32 v64, v135, v64, v67                             // 000000007FB8: D1FF0040 050E8187
	v_cndmask_b32_e64 v41, v64, v66, s[70:71]                  // 000000007FC0: D1000029 011A8540
	v_and_or_b32 v133, v41, v65, v40                           // 000000007FC8: D2010085 04A28329
	v_cmp_u_f32_e64 s[70:71], v136, v136                       // 000000007FD0: D0480046 00031188
	v_bfe_u32 v64, v136, 16, 1                                 // 000000007FD8: D1C80040 02052188
	v_add3_u32 v64, v136, v64, v67                             // 000000007FE0: D1FF0040 050E8188
	v_cndmask_b32_e64 v40, v64, v66, s[70:71]                  // 000000007FE8: D1000028 011A8540
	v_lshrrev_b32_e32 v40, 16, v40                             // 000000007FF0: 20505090
	v_cmp_u_f32_e64 s[70:71], v137, v137                       // 000000007FF4: D0480046 00031389
	v_bfe_u32 v64, v137, 16, 1                                 // 000000007FFC: D1C80040 02052189
	v_add3_u32 v64, v137, v64, v67                             // 000000008004: D1FF0040 050E8189
	v_cndmask_b32_e64 v41, v64, v66, s[70:71]                  // 00000000800C: D1000029 011A8540
	v_and_or_b32 v134, v41, v65, v40                           // 000000008014: D2010086 04A28329
	v_cmp_u_f32_e64 s[70:71], v138, v138                       // 00000000801C: D0480046 0003158A
	v_bfe_u32 v64, v138, 16, 1                                 // 000000008024: D1C80040 0205218A
	v_add3_u32 v64, v138, v64, v67                             // 00000000802C: D1FF0040 050E818A
	v_cndmask_b32_e64 v40, v64, v66, s[70:71]                  // 000000008034: D1000028 011A8540
	v_lshrrev_b32_e32 v40, 16, v40                             // 00000000803C: 20505090
	v_cmp_u_f32_e64 s[70:71], v139, v139                       // 000000008040: D0480046 0003178B
	v_bfe_u32 v64, v139, 16, 1                                 // 000000008048: D1C80040 0205218B
	v_add3_u32 v64, v139, v64, v67                             // 000000008050: D1FF0040 050E818B
	v_cndmask_b32_e64 v41, v64, v66, s[70:71]                  // 000000008058: D1000029 011A8540
	v_and_or_b32 v135, v41, v65, v40                           // 000000008060: D2010087 04A28329
	v_cmp_u_f32_e64 s[70:71], v140, v140                       // 000000008068: D0480046 0003198C
	v_bfe_u32 v64, v140, 16, 1                                 // 000000008070: D1C80040 0205218C
	v_add3_u32 v64, v140, v64, v67                             // 000000008078: D1FF0040 050E818C
	v_cndmask_b32_e64 v40, v64, v66, s[70:71]                  // 000000008080: D1000028 011A8540
	v_lshrrev_b32_e32 v40, 16, v40                             // 000000008088: 20505090
	v_cmp_u_f32_e64 s[70:71], v141, v141                       // 00000000808C: D0480046 00031B8D
	v_bfe_u32 v64, v141, 16, 1                                 // 000000008094: D1C80040 0205218D
	v_add3_u32 v64, v141, v64, v67                             // 00000000809C: D1FF0040 050E818D
	v_cndmask_b32_e64 v41, v64, v66, s[70:71]                  // 0000000080A4: D1000029 011A8540
	v_and_or_b32 v136, v41, v65, v40                           // 0000000080AC: D2010088 04A28329
	v_cmp_u_f32_e64 s[70:71], v142, v142                       // 0000000080B4: D0480046 00031D8E
	v_bfe_u32 v64, v142, 16, 1                                 // 0000000080BC: D1C80040 0205218E
	v_add3_u32 v64, v142, v64, v67                             // 0000000080C4: D1FF0040 050E818E
	v_cndmask_b32_e64 v40, v64, v66, s[70:71]                  // 0000000080CC: D1000028 011A8540
	v_lshrrev_b32_e32 v40, 16, v40                             // 0000000080D4: 20505090
	v_cmp_u_f32_e64 s[70:71], v143, v143                       // 0000000080D8: D0480046 00031F8F
	v_bfe_u32 v64, v143, 16, 1                                 // 0000000080E0: D1C80040 0205218F
	v_add3_u32 v64, v143, v64, v67                             // 0000000080E8: D1FF0040 050E818F
	v_cndmask_b32_e64 v41, v64, v66, s[70:71]                  // 0000000080F0: D1000029 011A8540
	v_and_or_b32 v137, v41, v65, v40                           // 0000000080F8: D2010089 04A28329
	v_cmp_u_f32_e64 s[70:71], v144, v144                       // 000000008100: D0480046 00032190
	v_bfe_u32 v64, v144, 16, 1                                 // 000000008108: D1C80040 02052190
	v_add3_u32 v64, v144, v64, v67                             // 000000008110: D1FF0040 050E8190
	v_cndmask_b32_e64 v40, v64, v66, s[70:71]                  // 000000008118: D1000028 011A8540
	v_lshrrev_b32_e32 v40, 16, v40                             // 000000008120: 20505090
	v_cmp_u_f32_e64 s[70:71], v145, v145                       // 000000008124: D0480046 00032391
	v_bfe_u32 v64, v145, 16, 1                                 // 00000000812C: D1C80040 02052191
	v_add3_u32 v64, v145, v64, v67                             // 000000008134: D1FF0040 050E8191
	v_cndmask_b32_e64 v41, v64, v66, s[70:71]                  // 00000000813C: D1000029 011A8540
	v_and_or_b32 v138, v41, v65, v40                           // 000000008144: D201008A 04A28329
	v_cmp_u_f32_e64 s[70:71], v146, v146                       // 00000000814C: D0480046 00032592
	v_bfe_u32 v64, v146, 16, 1                                 // 000000008154: D1C80040 02052192
	v_add3_u32 v64, v146, v64, v67                             // 00000000815C: D1FF0040 050E8192
	v_cndmask_b32_e64 v40, v64, v66, s[70:71]                  // 000000008164: D1000028 011A8540
	v_lshrrev_b32_e32 v40, 16, v40                             // 00000000816C: 20505090
	v_cmp_u_f32_e64 s[70:71], v147, v147                       // 000000008170: D0480046 00032793
	v_bfe_u32 v64, v147, 16, 1                                 // 000000008178: D1C80040 02052193
	v_add3_u32 v64, v147, v64, v67                             // 000000008180: D1FF0040 050E8193
	v_cndmask_b32_e64 v41, v64, v66, s[70:71]                  // 000000008188: D1000029 011A8540
	v_and_or_b32 v139, v41, v65, v40                           // 000000008190: D201008B 04A28329
	v_cmp_u_f32_e64 s[70:71], v148, v148                       // 000000008198: D0480046 00032994
	v_bfe_u32 v64, v148, 16, 1                                 // 0000000081A0: D1C80040 02052194
	v_add3_u32 v64, v148, v64, v67                             // 0000000081A8: D1FF0040 050E8194
	v_cndmask_b32_e64 v40, v64, v66, s[70:71]                  // 0000000081B0: D1000028 011A8540
	v_lshrrev_b32_e32 v40, 16, v40                             // 0000000081B8: 20505090
	v_cmp_u_f32_e64 s[70:71], v149, v149                       // 0000000081BC: D0480046 00032B95
	v_bfe_u32 v64, v149, 16, 1                                 // 0000000081C4: D1C80040 02052195
	v_add3_u32 v64, v149, v64, v67                             // 0000000081CC: D1FF0040 050E8195
	v_cndmask_b32_e64 v41, v64, v66, s[70:71]                  // 0000000081D4: D1000029 011A8540
	v_and_or_b32 v140, v41, v65, v40                           // 0000000081DC: D201008C 04A28329
	v_cmp_u_f32_e64 s[70:71], v150, v150                       // 0000000081E4: D0480046 00032D96
	v_bfe_u32 v64, v150, 16, 1                                 // 0000000081EC: D1C80040 02052196
	v_add3_u32 v64, v150, v64, v67                             // 0000000081F4: D1FF0040 050E8196
	v_cndmask_b32_e64 v40, v64, v66, s[70:71]                  // 0000000081FC: D1000028 011A8540
	v_lshrrev_b32_e32 v40, 16, v40                             // 000000008204: 20505090
	v_cmp_u_f32_e64 s[70:71], v151, v151                       // 000000008208: D0480046 00032F97
	v_bfe_u32 v64, v151, 16, 1                                 // 000000008210: D1C80040 02052197
	v_add3_u32 v64, v151, v64, v67                             // 000000008218: D1FF0040 050E8197
	v_cndmask_b32_e64 v41, v64, v66, s[70:71]                  // 000000008220: D1000029 011A8540
	v_and_or_b32 v141, v41, v65, v40                           // 000000008228: D201008D 04A28329
	v_cmp_u_f32_e64 s[70:71], v152, v152                       // 000000008230: D0480046 00033198
	v_bfe_u32 v64, v152, 16, 1                                 // 000000008238: D1C80040 02052198
	v_add3_u32 v64, v152, v64, v67                             // 000000008240: D1FF0040 050E8198
	v_cndmask_b32_e64 v40, v64, v66, s[70:71]                  // 000000008248: D1000028 011A8540
	v_lshrrev_b32_e32 v40, 16, v40                             // 000000008250: 20505090
	v_cmp_u_f32_e64 s[70:71], v153, v153                       // 000000008254: D0480046 00033399
	v_bfe_u32 v64, v153, 16, 1                                 // 00000000825C: D1C80040 02052199
	v_add3_u32 v64, v153, v64, v67                             // 000000008264: D1FF0040 050E8199
	v_cndmask_b32_e64 v41, v64, v66, s[70:71]                  // 00000000826C: D1000029 011A8540
	v_and_or_b32 v142, v41, v65, v40                           // 000000008274: D201008E 04A28329
	v_cmp_u_f32_e64 s[70:71], v154, v154                       // 00000000827C: D0480046 0003359A
	v_bfe_u32 v64, v154, 16, 1                                 // 000000008284: D1C80040 0205219A
	v_add3_u32 v64, v154, v64, v67                             // 00000000828C: D1FF0040 050E819A
	v_cndmask_b32_e64 v40, v64, v66, s[70:71]                  // 000000008294: D1000028 011A8540
	v_lshrrev_b32_e32 v40, 16, v40                             // 00000000829C: 20505090
	v_cmp_u_f32_e64 s[70:71], v155, v155                       // 0000000082A0: D0480046 0003379B
	v_bfe_u32 v64, v155, 16, 1                                 // 0000000082A8: D1C80040 0205219B
	v_add3_u32 v64, v155, v64, v67                             // 0000000082B0: D1FF0040 050E819B
	v_cndmask_b32_e64 v41, v64, v66, s[70:71]                  // 0000000082B8: D1000029 011A8540
	v_and_or_b32 v143, v41, v65, v40                           // 0000000082C0: D201008F 04A28329
	v_cmp_u_f32_e64 s[70:71], v156, v156                       // 0000000082C8: D0480046 0003399C
	v_bfe_u32 v64, v156, 16, 1                                 // 0000000082D0: D1C80040 0205219C
	v_add3_u32 v64, v156, v64, v67                             // 0000000082D8: D1FF0040 050E819C
	v_cndmask_b32_e64 v40, v64, v66, s[70:71]                  // 0000000082E0: D1000028 011A8540
	v_lshrrev_b32_e32 v40, 16, v40                             // 0000000082E8: 20505090
	v_cmp_u_f32_e64 s[70:71], v157, v157                       // 0000000082EC: D0480046 00033B9D
	v_bfe_u32 v64, v157, 16, 1                                 // 0000000082F4: D1C80040 0205219D
	v_add3_u32 v64, v157, v64, v67                             // 0000000082FC: D1FF0040 050E819D
	v_cndmask_b32_e64 v41, v64, v66, s[70:71]                  // 000000008304: D1000029 011A8540
	v_and_or_b32 v144, v41, v65, v40                           // 00000000830C: D2010090 04A28329
	v_cmp_u_f32_e64 s[70:71], v158, v158                       // 000000008314: D0480046 00033D9E
	v_bfe_u32 v64, v158, 16, 1                                 // 00000000831C: D1C80040 0205219E
	v_add3_u32 v64, v158, v64, v67                             // 000000008324: D1FF0040 050E819E
	v_cndmask_b32_e64 v40, v64, v66, s[70:71]                  // 00000000832C: D1000028 011A8540
	v_lshrrev_b32_e32 v40, 16, v40                             // 000000008334: 20505090
	v_cmp_u_f32_e64 s[70:71], v159, v159                       // 000000008338: D0480046 00033F9F
	v_bfe_u32 v64, v159, 16, 1                                 // 000000008340: D1C80040 0205219F
	v_add3_u32 v64, v159, v64, v67                             // 000000008348: D1FF0040 050E819F
	v_cndmask_b32_e64 v41, v64, v66, s[70:71]                  // 000000008350: D1000029 011A8540
	v_and_or_b32 v145, v41, v65, v40                           // 000000008358: D2010091 04A28329
	v_cmp_u_f32_e64 s[70:71], v160, v160                       // 000000008360: D0480046 000341A0
	v_bfe_u32 v64, v160, 16, 1                                 // 000000008368: D1C80040 020521A0
	v_add3_u32 v64, v160, v64, v67                             // 000000008370: D1FF0040 050E81A0
	v_cndmask_b32_e64 v40, v64, v66, s[70:71]                  // 000000008378: D1000028 011A8540
	v_lshrrev_b32_e32 v40, 16, v40                             // 000000008380: 20505090
	v_cmp_u_f32_e64 s[70:71], v161, v161                       // 000000008384: D0480046 000343A1
	v_bfe_u32 v64, v161, 16, 1                                 // 00000000838C: D1C80040 020521A1
	v_add3_u32 v64, v161, v64, v67                             // 000000008394: D1FF0040 050E81A1
	v_cndmask_b32_e64 v41, v64, v66, s[70:71]                  // 00000000839C: D1000029 011A8540
	v_and_or_b32 v146, v41, v65, v40                           // 0000000083A4: D2010092 04A28329
	v_cmp_u_f32_e64 s[70:71], v162, v162                       // 0000000083AC: D0480046 000345A2
	v_bfe_u32 v64, v162, 16, 1                                 // 0000000083B4: D1C80040 020521A2
	v_add3_u32 v64, v162, v64, v67                             // 0000000083BC: D1FF0040 050E81A2
	v_cndmask_b32_e64 v40, v64, v66, s[70:71]                  // 0000000083C4: D1000028 011A8540
	v_lshrrev_b32_e32 v40, 16, v40                             // 0000000083CC: 20505090
	v_cmp_u_f32_e64 s[70:71], v163, v163                       // 0000000083D0: D0480046 000347A3
	v_bfe_u32 v64, v163, 16, 1                                 // 0000000083D8: D1C80040 020521A3
	v_add3_u32 v64, v163, v64, v67                             // 0000000083E0: D1FF0040 050E81A3
	v_cndmask_b32_e64 v41, v64, v66, s[70:71]                  // 0000000083E8: D1000029 011A8540
	v_and_or_b32 v147, v41, v65, v40                           // 0000000083F0: D2010093 04A28329
	ds_write_b64 v59, v[132:133]                               // 0000000083F8: D89A0000 0000843B
	ds_write_b64 v59, v[134:135] offset:528                    // 000000008400: D89A0210 0000863B
	ds_write_b64 v59, v[136:137] offset:1056                   // 000000008408: D89A0420 0000883B
	ds_write_b64 v59, v[138:139] offset:1584                   // 000000008410: D89A0630 00008A3B
	ds_write_b64 v59, v[140:141] offset:2112                   // 000000008418: D89A0840 00008C3B
	ds_write_b64 v59, v[142:143] offset:2640                   // 000000008420: D89A0A50 00008E3B
	ds_write_b64 v59, v[144:145] offset:3168                   // 000000008428: D89A0C60 0000903B
	ds_write_b64 v59, v[146:147] offset:3696                   // 000000008430: D89A0E70 0000923B
	s_waitcnt vmcnt(0) expcnt(0) lgkmcnt(0)                    // 000000008438: BF8C0000
	ds_read_b64 v[132:133], v58                                // 00000000843C: D8EC0000 8400003A
	ds_read_b64 v[134:135], v58 offset:264                     // 000000008444: D8EC0108 8600003A
	ds_read_b64 v[136:137], v58 offset:64                      // 00000000844C: D8EC0040 8800003A
	ds_read_b64 v[138:139], v58 offset:328                     // 000000008454: D8EC0148 8A00003A
	ds_read_b64 v[140:141], v58 offset:128                     // 00000000845C: D8EC0080 8C00003A
	ds_read_b64 v[142:143], v58 offset:392                     // 000000008464: D8EC0188 8E00003A
	ds_read_b64 v[144:145], v58 offset:192                     // 00000000846C: D8EC00C0 9000003A
	ds_read_b64 v[146:147], v58 offset:456                     // 000000008474: D8EC01C8 9200003A
	s_waitcnt vmcnt(0) expcnt(0) lgkmcnt(0)                    // 00000000847C: BF8C0000
	buffer_store_dwordx4 v[132:135], v28, s[20:23], 0 offen offset:128// 000000008480: E07C1080 8005841C
	buffer_store_dwordx4 v[136:139], v29, s[20:23], 0 offen offset:128// 000000008488: E07C1080 8005881D
	buffer_store_dwordx4 v[140:143], v30, s[20:23], 0 offen offset:128// 000000008490: E07C1080 80058C1E
	buffer_store_dwordx4 v[144:147], v31, s[20:23], 0 offen offset:128// 000000008498: E07C1080 8005901F
	s_cmp_eq_u32 s37, 0                                        // 0000000084A0: BF068025
	s_cbranch_scc1 label_1470                                  // 0000000084A4: BF850006
	v_cmp_ge_f32_e64 s[40:41], v2, v55                         // 0000000084A8: D0460028 00026F02
	v_cndmask_b32_e64 v2, v55, v2, s[40:41]                    // 0000000084B0: D1000002 00A20537
	buffer_store_dword v2, v3, s[24:27], 0 offen               // 0000000084B8: E0701000 80060203

00000000000084c0 <label_1470>:
	s_waitcnt vmcnt(0) expcnt(0) lgkmcnt(0)                    // 0000000084C0: BF8C0000
	s_endpgm                                                   // 0000000084C4: BF810000
